;; amdgpu-corpus repo=ROCm/rocFFT kind=compiled arch=gfx1201 opt=O3
	.text
	.amdgcn_target "amdgcn-amd-amdhsa--gfx1201"
	.amdhsa_code_object_version 6
	.protected	fft_rtc_fwd_len160_factors_4_10_4_wgs_192_tpt_16_half_ip_CI_sbcc_twdbase8_3step_dirReg ; -- Begin function fft_rtc_fwd_len160_factors_4_10_4_wgs_192_tpt_16_half_ip_CI_sbcc_twdbase8_3step_dirReg
	.globl	fft_rtc_fwd_len160_factors_4_10_4_wgs_192_tpt_16_half_ip_CI_sbcc_twdbase8_3step_dirReg
	.p2align	8
	.type	fft_rtc_fwd_len160_factors_4_10_4_wgs_192_tpt_16_half_ip_CI_sbcc_twdbase8_3step_dirReg,@function
fft_rtc_fwd_len160_factors_4_10_4_wgs_192_tpt_16_half_ip_CI_sbcc_twdbase8_3step_dirReg: ; @fft_rtc_fwd_len160_factors_4_10_4_wgs_192_tpt_16_half_ip_CI_sbcc_twdbase8_3step_dirReg
; %bb.0:
	s_load_b128 s[12:15], s[0:1], 0x18
	s_mov_b32 s19, 0
	s_mov_b32 s2, 0x55540000
	s_movk_i32 s3, 0x55
	s_mov_b32 s18, s19
	s_mov_b64 s[26:27], 0
	s_add_nc_u64 s[4:5], s[18:19], s[2:3]
	s_delay_alu instid0(SALU_CYCLE_1) | instskip(NEXT) | instid1(SALU_CYCLE_1)
	s_add_co_i32 s5, s5, 0x15555500
	s_mul_u64 s[6:7], s[4:5], -12
	s_delay_alu instid0(SALU_CYCLE_1)
	s_mul_hi_u32 s9, s4, s7
	s_mul_i32 s8, s4, s7
	s_mul_hi_u32 s18, s4, s6
	s_mul_i32 s11, s5, s6
	s_add_nc_u64 s[8:9], s[18:19], s[8:9]
	s_mul_hi_u32 s10, s5, s6
	s_mul_hi_u32 s16, s5, s7
	s_mul_i32 s6, s5, s7
	s_wait_kmcnt 0x0
	s_load_b64 s[2:3], s[12:13], 0x8
	s_add_co_u32 s7, s8, s11
	s_add_co_ci_u32 s18, s9, s10
	s_add_co_ci_u32 s7, s16, 0
	s_delay_alu instid0(SALU_CYCLE_1) | instskip(NEXT) | instid1(SALU_CYCLE_1)
	s_add_nc_u64 s[6:7], s[18:19], s[6:7]
	v_add_co_u32 v1, s4, s4, s6
	s_delay_alu instid0(VALU_DEP_1) | instskip(SKIP_1) | instid1(VALU_DEP_1)
	s_cmp_lg_u32 s4, 0
	s_add_co_ci_u32 s8, s5, s7
	v_readfirstlane_b32 s9, v1
	s_wait_kmcnt 0x0
	s_add_nc_u64 s[4:5], s[2:3], -1
	s_wait_alu 0xfffe
	s_mul_hi_u32 s7, s4, s8
	s_mul_i32 s6, s4, s8
	s_mul_hi_u32 s18, s4, s9
	s_mul_hi_u32 s11, s5, s9
	s_mul_i32 s9, s5, s9
	s_wait_alu 0xfffe
	s_add_nc_u64 s[6:7], s[18:19], s[6:7]
	s_mul_hi_u32 s10, s5, s8
	s_wait_alu 0xfffe
	s_add_co_u32 s6, s6, s9
	s_add_co_ci_u32 s18, s7, s11
	s_mul_i32 s8, s5, s8
	s_add_co_ci_u32 s9, s10, 0
	s_delay_alu instid0(SALU_CYCLE_1) | instskip(SKIP_3) | instid1(SALU_CYCLE_1)
	s_add_nc_u64 s[6:7], s[18:19], s[8:9]
	s_mov_b32 s18, ttmp9
	s_wait_alu 0xfffe
	s_mul_u64 s[8:9], s[6:7], 12
	v_sub_co_u32 v1, s4, s4, s8
	s_delay_alu instid0(VALU_DEP_1) | instskip(SKIP_1) | instid1(VALU_DEP_1)
	s_cmp_lg_u32 s4, 0
	s_sub_co_ci_u32 s10, s5, s9
	v_sub_co_u32 v2, s8, v1, 12
	s_delay_alu instid0(VALU_DEP_1) | instskip(SKIP_2) | instid1(VALU_DEP_2)
	s_cmp_lg_u32 s8, 0
	v_readfirstlane_b32 s16, v1
	s_sub_co_ci_u32 s8, s10, 0
	v_readfirstlane_b32 s4, v2
	s_delay_alu instid0(VALU_DEP_1)
	s_cmp_gt_u32 s4, 11
	s_add_nc_u64 s[4:5], s[6:7], 1
	s_cselect_b32 s11, -1, 0
	s_wait_alu 0xfffe
	s_cmp_eq_u32 s8, 0
	s_add_nc_u64 s[8:9], s[6:7], 2
	s_cselect_b32 s11, s11, -1
	s_delay_alu instid0(SALU_CYCLE_1)
	s_cmp_lg_u32 s11, 0
	s_wait_alu 0xfffe
	s_cselect_b32 s4, s8, s4
	s_cselect_b32 s5, s9, s5
	s_cmp_gt_u32 s16, 11
	s_cselect_b32 s8, -1, 0
	s_cmp_eq_u32 s10, 0
	s_wait_alu 0xfffe
	s_cselect_b32 s8, s8, -1
	s_wait_alu 0xfffe
	s_cmp_lg_u32 s8, 0
	s_cselect_b32 s5, s5, s7
	s_cselect_b32 s4, s4, s6
	s_wait_alu 0xfffe
	s_add_nc_u64 s[20:21], s[4:5], 1
	s_delay_alu instid0(SALU_CYCLE_1) | instskip(NEXT) | instid1(VALU_DEP_1)
	v_cmp_lt_u64_e64 s4, s[18:19], s[20:21]
	s_and_b32 vcc_lo, exec_lo, s4
	s_cbranch_vccnz .LBB0_2
; %bb.1:
	v_cvt_f32_u32_e32 v1, s20
	s_sub_co_i32 s5, 0, s20
	s_mov_b32 s27, s19
	s_delay_alu instid0(VALU_DEP_1) | instskip(NEXT) | instid1(TRANS32_DEP_1)
	v_rcp_iflag_f32_e32 v1, v1
	v_mul_f32_e32 v1, 0x4f7ffffe, v1
	s_delay_alu instid0(VALU_DEP_1) | instskip(NEXT) | instid1(VALU_DEP_1)
	v_cvt_u32_f32_e32 v1, v1
	v_readfirstlane_b32 s4, v1
	s_wait_alu 0xfffe
	s_delay_alu instid0(VALU_DEP_1)
	s_mul_i32 s5, s5, s4
	s_wait_alu 0xfffe
	s_mul_hi_u32 s5, s4, s5
	s_wait_alu 0xfffe
	s_add_co_i32 s4, s4, s5
	s_wait_alu 0xfffe
	s_mul_hi_u32 s4, s18, s4
	s_wait_alu 0xfffe
	s_mul_i32 s5, s4, s20
	s_add_co_i32 s6, s4, 1
	s_wait_alu 0xfffe
	s_sub_co_i32 s5, s18, s5
	s_wait_alu 0xfffe
	s_sub_co_i32 s7, s5, s20
	s_cmp_ge_u32 s5, s20
	s_cselect_b32 s4, s6, s4
	s_wait_alu 0xfffe
	s_cselect_b32 s5, s7, s5
	s_add_co_i32 s6, s4, 1
	s_wait_alu 0xfffe
	s_cmp_ge_u32 s5, s20
	s_cselect_b32 s26, s6, s4
.LBB0_2:
	s_load_b128 s[8:11], s[0:1], 0x8
	s_load_b128 s[4:7], s[14:15], 0x0
	s_load_b64 s[16:17], s[0:1], 0x0
	s_mul_u64 s[22:23], s[26:27], s[20:21]
	s_delay_alu instid0(SALU_CYCLE_1) | instskip(NEXT) | instid1(SALU_CYCLE_1)
	s_sub_nc_u64 s[22:23], s[18:19], s[22:23]
	s_mul_u64 s[22:23], s[22:23], 12
	s_wait_kmcnt 0x0
	v_cmp_lt_u64_e64 s24, s[10:11], 3
	s_delay_alu instid0(VALU_DEP_1)
	s_and_b32 vcc_lo, exec_lo, s24
	s_mul_u64 s[24:25], s[6:7], s[22:23]
	s_cbranch_vccnz .LBB0_12
; %bb.3:
	s_add_nc_u64 s[28:29], s[14:15], 16
	s_add_nc_u64 s[12:13], s[12:13], 16
	s_mov_b64 s[30:31], 2
	s_mov_b32 s34, 0
.LBB0_4:                                ; =>This Inner Loop Header: Depth=1
	s_load_b64 s[36:37], s[12:13], 0x0
                                        ; implicit-def: $sgpr40_sgpr41
	s_wait_kmcnt 0x0
	s_or_b64 s[38:39], s[26:27], s[36:37]
	s_delay_alu instid0(SALU_CYCLE_1)
	s_mov_b32 s35, s39
	s_mov_b32 s39, -1
	s_cmp_lg_u64 s[34:35], 0
	s_cbranch_scc0 .LBB0_6
; %bb.5:                                ;   in Loop: Header=BB0_4 Depth=1
	s_cvt_f32_u32 s33, s36
	s_cvt_f32_u32 s35, s37
	s_sub_nc_u64 s[42:43], 0, s[36:37]
	s_mov_b32 s39, 0
	s_mov_b32 s47, s34
	s_wait_alu 0xfffe
	s_fmamk_f32 s33, s35, 0x4f800000, s33
	s_wait_alu 0xfffe
	s_delay_alu instid0(SALU_CYCLE_2) | instskip(NEXT) | instid1(TRANS32_DEP_1)
	v_s_rcp_f32 s33, s33
	s_mul_f32 s33, s33, 0x5f7ffffc
	s_wait_alu 0xfffe
	s_delay_alu instid0(SALU_CYCLE_2) | instskip(NEXT) | instid1(SALU_CYCLE_3)
	s_mul_f32 s35, s33, 0x2f800000
	s_trunc_f32 s35, s35
	s_delay_alu instid0(SALU_CYCLE_3) | instskip(SKIP_2) | instid1(SALU_CYCLE_1)
	s_fmamk_f32 s33, s35, 0xcf800000, s33
	s_cvt_u32_f32 s41, s35
	s_wait_alu 0xfffe
	s_cvt_u32_f32 s40, s33
	s_wait_alu 0xfffe
	s_delay_alu instid0(SALU_CYCLE_2)
	s_mul_u64 s[44:45], s[42:43], s[40:41]
	s_wait_alu 0xfffe
	s_mul_hi_u32 s49, s40, s45
	s_mul_i32 s48, s40, s45
	s_mul_hi_u32 s38, s40, s44
	s_mul_i32 s35, s41, s44
	s_add_nc_u64 s[48:49], s[38:39], s[48:49]
	s_mul_hi_u32 s33, s41, s44
	s_mul_hi_u32 s50, s41, s45
	s_add_co_u32 s35, s48, s35
	s_wait_alu 0xfffe
	s_add_co_ci_u32 s46, s49, s33
	s_mul_i32 s44, s41, s45
	s_add_co_ci_u32 s45, s50, 0
	s_wait_alu 0xfffe
	s_add_nc_u64 s[44:45], s[46:47], s[44:45]
	s_wait_alu 0xfffe
	v_add_co_u32 v1, s33, s40, s44
	s_delay_alu instid0(VALU_DEP_1) | instskip(SKIP_1) | instid1(VALU_DEP_1)
	s_cmp_lg_u32 s33, 0
	s_add_co_ci_u32 s41, s41, s45
	v_readfirstlane_b32 s40, v1
	s_mov_b32 s45, s34
	s_wait_alu 0xfffe
	s_delay_alu instid0(VALU_DEP_1)
	s_mul_u64 s[42:43], s[42:43], s[40:41]
	s_wait_alu 0xfffe
	s_mul_hi_u32 s47, s40, s43
	s_mul_i32 s46, s40, s43
	s_mul_hi_u32 s38, s40, s42
	s_mul_i32 s35, s41, s42
	s_add_nc_u64 s[46:47], s[38:39], s[46:47]
	s_mul_hi_u32 s33, s41, s42
	s_mul_hi_u32 s40, s41, s43
	s_add_co_u32 s35, s46, s35
	s_wait_alu 0xfffe
	s_add_co_ci_u32 s44, s47, s33
	s_mul_i32 s42, s41, s43
	s_add_co_ci_u32 s43, s40, 0
	s_wait_alu 0xfffe
	s_add_nc_u64 s[42:43], s[44:45], s[42:43]
	s_wait_alu 0xfffe
	v_add_co_u32 v1, s33, v1, s42
	s_delay_alu instid0(VALU_DEP_1) | instskip(SKIP_1) | instid1(VALU_DEP_1)
	s_cmp_lg_u32 s33, 0
	s_add_co_ci_u32 s33, s41, s43
	v_readfirstlane_b32 s35, v1
	s_wait_alu 0xfffe
	s_mul_hi_u32 s41, s26, s33
	s_mul_i32 s40, s26, s33
	s_mul_hi_u32 s43, s27, s33
	s_mul_i32 s42, s27, s33
	;; [unrolled: 2-line block ×3, first 2 shown]
	s_wait_alu 0xfffe
	s_add_nc_u64 s[40:41], s[38:39], s[40:41]
	s_mul_hi_u32 s35, s27, s35
	s_wait_alu 0xfffe
	s_add_co_u32 s33, s40, s33
	s_add_co_ci_u32 s44, s41, s35
	s_add_co_ci_u32 s43, s43, 0
	s_wait_alu 0xfffe
	s_add_nc_u64 s[40:41], s[44:45], s[42:43]
	s_wait_alu 0xfffe
	s_mul_u64 s[42:43], s[36:37], s[40:41]
	s_add_nc_u64 s[44:45], s[40:41], 1
	s_wait_alu 0xfffe
	v_sub_co_u32 v1, s33, s26, s42
	s_sub_co_i32 s35, s27, s43
	s_cmp_lg_u32 s33, 0
	s_add_nc_u64 s[46:47], s[40:41], 2
	s_delay_alu instid0(VALU_DEP_1) | instskip(SKIP_2) | instid1(VALU_DEP_1)
	v_sub_co_u32 v2, s38, v1, s36
	s_sub_co_ci_u32 s35, s35, s37
	s_cmp_lg_u32 s38, 0
	v_readfirstlane_b32 s38, v2
	s_sub_co_ci_u32 s35, s35, 0
	s_delay_alu instid0(SALU_CYCLE_1) | instskip(SKIP_1) | instid1(VALU_DEP_1)
	s_cmp_ge_u32 s35, s37
	s_cselect_b32 s42, -1, 0
	s_cmp_ge_u32 s38, s36
	s_cselect_b32 s38, -1, 0
	s_cmp_eq_u32 s35, s37
	s_wait_alu 0xfffe
	s_cselect_b32 s35, s38, s42
	s_delay_alu instid0(SALU_CYCLE_1)
	s_cmp_lg_u32 s35, 0
	s_cselect_b32 s35, s46, s44
	s_cselect_b32 s38, s47, s45
	s_cmp_lg_u32 s33, 0
	v_readfirstlane_b32 s33, v1
	s_sub_co_ci_u32 s42, s27, s43
	s_wait_alu 0xfffe
	s_cmp_ge_u32 s42, s37
	s_cselect_b32 s43, -1, 0
	s_cmp_ge_u32 s33, s36
	s_cselect_b32 s33, -1, 0
	s_cmp_eq_u32 s42, s37
	s_wait_alu 0xfffe
	s_cselect_b32 s33, s33, s43
	s_wait_alu 0xfffe
	s_cmp_lg_u32 s33, 0
	s_cselect_b32 s41, s38, s41
	s_cselect_b32 s40, s35, s40
.LBB0_6:                                ;   in Loop: Header=BB0_4 Depth=1
	s_and_not1_b32 vcc_lo, exec_lo, s39
	s_cbranch_vccnz .LBB0_8
; %bb.7:                                ;   in Loop: Header=BB0_4 Depth=1
	v_cvt_f32_u32_e32 v1, s36
	s_sub_co_i32 s35, 0, s36
	s_mov_b32 s41, s34
	s_delay_alu instid0(VALU_DEP_1) | instskip(NEXT) | instid1(TRANS32_DEP_1)
	v_rcp_iflag_f32_e32 v1, v1
	v_mul_f32_e32 v1, 0x4f7ffffe, v1
	s_delay_alu instid0(VALU_DEP_1) | instskip(NEXT) | instid1(VALU_DEP_1)
	v_cvt_u32_f32_e32 v1, v1
	v_readfirstlane_b32 s33, v1
	s_delay_alu instid0(VALU_DEP_1) | instskip(NEXT) | instid1(SALU_CYCLE_1)
	s_mul_i32 s35, s35, s33
	s_mul_hi_u32 s35, s33, s35
	s_delay_alu instid0(SALU_CYCLE_1)
	s_add_co_i32 s33, s33, s35
	s_wait_alu 0xfffe
	s_mul_hi_u32 s33, s26, s33
	s_wait_alu 0xfffe
	s_mul_i32 s35, s33, s36
	s_add_co_i32 s38, s33, 1
	s_sub_co_i32 s35, s26, s35
	s_delay_alu instid0(SALU_CYCLE_1)
	s_sub_co_i32 s39, s35, s36
	s_cmp_ge_u32 s35, s36
	s_cselect_b32 s33, s38, s33
	s_cselect_b32 s35, s39, s35
	s_wait_alu 0xfffe
	s_add_co_i32 s38, s33, 1
	s_cmp_ge_u32 s35, s36
	s_cselect_b32 s40, s38, s33
.LBB0_8:                                ;   in Loop: Header=BB0_4 Depth=1
	s_load_b64 s[38:39], s[28:29], 0x0
	s_add_nc_u64 s[30:31], s[30:31], 1
	s_mul_u64 s[20:21], s[36:37], s[20:21]
	s_wait_alu 0xfffe
	v_cmp_ge_u64_e64 s33, s[30:31], s[10:11]
	s_mul_u64 s[36:37], s[40:41], s[36:37]
	s_add_nc_u64 s[28:29], s[28:29], 8
	s_wait_alu 0xfffe
	s_sub_nc_u64 s[26:27], s[26:27], s[36:37]
	s_add_nc_u64 s[12:13], s[12:13], 8
	s_and_b32 vcc_lo, exec_lo, s33
	s_wait_kmcnt 0x0
	s_wait_alu 0xfffe
	s_mul_u64 s[26:27], s[38:39], s[26:27]
	s_wait_alu 0xfffe
	s_add_nc_u64 s[24:25], s[26:27], s[24:25]
	s_cbranch_vccnz .LBB0_10
; %bb.9:                                ;   in Loop: Header=BB0_4 Depth=1
	s_mov_b64 s[26:27], s[40:41]
	s_branch .LBB0_4
.LBB0_10:
	v_cmp_lt_u64_e64 s12, s[18:19], s[20:21]
	s_mov_b64 s[26:27], 0
	s_delay_alu instid0(VALU_DEP_1)
	s_and_b32 vcc_lo, exec_lo, s12
	s_cbranch_vccnz .LBB0_12
; %bb.11:
	v_cvt_f32_u32_e32 v1, s20
	s_sub_co_i32 s13, 0, s20
	s_mov_b32 s27, 0
	s_delay_alu instid0(VALU_DEP_1) | instskip(NEXT) | instid1(TRANS32_DEP_1)
	v_rcp_iflag_f32_e32 v1, v1
	v_mul_f32_e32 v1, 0x4f7ffffe, v1
	s_delay_alu instid0(VALU_DEP_1) | instskip(NEXT) | instid1(VALU_DEP_1)
	v_cvt_u32_f32_e32 v1, v1
	v_readfirstlane_b32 s12, v1
	s_delay_alu instid0(VALU_DEP_1) | instskip(NEXT) | instid1(SALU_CYCLE_1)
	s_mul_i32 s13, s13, s12
	s_mul_hi_u32 s13, s12, s13
	s_delay_alu instid0(SALU_CYCLE_1) | instskip(NEXT) | instid1(SALU_CYCLE_1)
	s_add_co_i32 s12, s12, s13
	s_mul_hi_u32 s12, s18, s12
	s_delay_alu instid0(SALU_CYCLE_1) | instskip(NEXT) | instid1(SALU_CYCLE_1)
	s_mul_i32 s13, s12, s20
	s_sub_co_i32 s13, s18, s13
	s_add_co_i32 s18, s12, 1
	s_sub_co_i32 s19, s13, s20
	s_cmp_ge_u32 s13, s20
	s_wait_alu 0xfffe
	s_cselect_b32 s12, s18, s12
	s_cselect_b32 s13, s19, s13
	s_add_co_i32 s18, s12, 1
	s_cmp_ge_u32 s13, s20
	s_wait_alu 0xfffe
	s_cselect_b32 s26, s18, s12
.LBB0_12:
	v_mul_u32_u24_e32 v1, 0x1556, v0
	s_load_b64 s[12:13], s[0:1], 0x58
	s_lshl_b64 s[0:1], s[10:11], 3
	s_delay_alu instid0(SALU_CYCLE_1) | instskip(NEXT) | instid1(VALU_DEP_1)
	s_add_nc_u64 s[0:1], s[14:15], s[0:1]
	v_lshrrev_b32_e32 v11, 16, v1
	s_load_b64 s[10:11], s[0:1], 0x0
	s_add_nc_u64 s[0:1], s[22:23], 12
	s_delay_alu instid0(SALU_CYCLE_1) | instskip(NEXT) | instid1(VALU_DEP_2)
	v_cmp_le_u64_e64 s1, s[0:1], s[2:3]
	v_mul_lo_u16 v1, v11, 12
	v_add_nc_u32_e32 v13, 40, v11
	v_add_nc_u32_e32 v14, 0x50, v11
	v_add_nc_u32_e32 v12, 0x78, v11
	s_and_b32 vcc_lo, exec_lo, s1
	v_sub_nc_u16 v1, v0, v1
	s_delay_alu instid0(VALU_DEP_1) | instskip(SKIP_3) | instid1(VALU_DEP_2)
	v_and_b32_e32 v15, 0xffff, v1
	v_add_nc_u32_e32 v1, 16, v11
	s_wait_kmcnt 0x0
	s_mul_u64 s[10:11], s[10:11], s[26:27]
	v_add_co_u32 v3, s0, s22, v15
	s_wait_alu 0xf1ff
	v_add_co_ci_u32_e64 v4, null, s23, 0, s0
	v_cmp_gt_u32_e64 s0, 0x60, v0
	s_wait_alu 0xfffe
	s_add_nc_u64 s[10:11], s[10:11], s[24:25]
	s_cbranch_vccz .LBB0_16
; %bb.13:
	v_mad_co_u64_u32 v[5:6], null, s6, v15, 0
	v_mad_co_u64_u32 v[7:8], null, s4, v11, 0
	;; [unrolled: 1-line block ×4, first 2 shown]
	s_delay_alu instid0(VALU_DEP_4)
	v_mov_b32_e32 v2, v6
	v_mad_co_u64_u32 v[22:23], null, s4, v12, 0
	v_mov_b32_e32 v6, v8
	s_wait_alu 0xfffe
	s_lshl_b64 s[14:15], s[10:11], 2
	v_mad_co_u64_u32 v[16:17], null, s7, v15, v[2:3]
	v_dual_mov_b32 v2, v10 :: v_dual_add_nc_u32 v33, 0x88, v11
	v_mad_co_u64_u32 v[17:18], null, s5, v11, v[6:7]
	s_add_nc_u64 s[14:15], s[12:13], s[14:15]
	s_delay_alu instid0(VALU_DEP_2) | instskip(NEXT) | instid1(VALU_DEP_4)
	v_mad_co_u64_u32 v[18:19], null, s5, v13, v[2:3]
	v_mov_b32_e32 v6, v16
	v_mov_b32_e32 v2, v21
	v_add_nc_u32_e32 v16, 16, v11
	v_dual_mov_b32 v8, v17 :: v_dual_add_nc_u32 v17, 56, v11
	s_delay_alu instid0(VALU_DEP_4)
	v_lshlrev_b64_e32 v[5:6], 2, v[5:6]
	v_mov_b32_e32 v10, v18
	v_mad_co_u64_u32 v[24:25], null, s5, v14, v[2:3]
	v_mov_b32_e32 v2, v23
	v_or_b32_e32 v32, 0x60, v11
	v_add_co_u32 v18, vcc_lo, s14, v5
	v_add_co_ci_u32_e32 v19, vcc_lo, s15, v6, vcc_lo
	v_lshlrev_b64_e32 v[5:6], 2, v[9:10]
	v_mad_co_u64_u32 v[9:10], null, s4, v16, 0
	v_mov_b32_e32 v21, v24
	v_mad_co_u64_u32 v[23:24], null, s5, v12, v[2:3]
	v_mad_co_u64_u32 v[24:25], null, s4, v17, 0
	v_lshlrev_b64_e32 v[7:8], 2, v[7:8]
	v_mov_b32_e32 v2, v10
	v_lshlrev_b64_e32 v[20:21], 2, v[20:21]
	v_lshlrev_b64_e32 v[22:23], 2, v[22:23]
	s_delay_alu instid0(VALU_DEP_3) | instskip(SKIP_3) | instid1(VALU_DEP_3)
	v_mad_co_u64_u32 v[26:27], null, s5, v16, v[2:3]
	v_mov_b32_e32 v2, v25
	v_mad_co_u64_u32 v[27:28], null, s4, v32, 0
	v_add_co_u32 v7, vcc_lo, v18, v7
	v_mad_co_u64_u32 v[29:30], null, s5, v17, v[2:3]
	v_mad_co_u64_u32 v[30:31], null, s4, v33, 0
	s_delay_alu instid0(VALU_DEP_4)
	v_mov_b32_e32 v2, v28
	v_mov_b32_e32 v10, v26
	s_wait_alu 0xfffd
	v_add_co_ci_u32_e32 v8, vcc_lo, v19, v8, vcc_lo
	v_mov_b32_e32 v25, v29
	v_add_co_u32 v5, vcc_lo, v18, v5
	v_mad_co_u64_u32 v[28:29], null, s5, v32, v[2:3]
	v_mov_b32_e32 v2, v31
	s_wait_alu 0xfffd
	v_add_co_ci_u32_e32 v6, vcc_lo, v19, v6, vcc_lo
	v_add_co_u32 v20, vcc_lo, v18, v20
	v_lshlrev_b64_e32 v[9:10], 2, v[9:10]
	s_wait_alu 0xfffd
	v_add_co_ci_u32_e32 v21, vcc_lo, v19, v21, vcc_lo
	v_add_co_u32 v22, vcc_lo, v18, v22
	v_mad_co_u64_u32 v[31:32], null, s5, v33, v[2:3]
	s_wait_alu 0xfffd
	v_add_co_ci_u32_e32 v23, vcc_lo, v19, v23, vcc_lo
	v_lshlrev_b64_e32 v[24:25], 2, v[24:25]
	v_add_co_u32 v32, vcc_lo, v18, v9
	s_wait_alu 0xfffd
	v_add_co_ci_u32_e32 v33, vcc_lo, v19, v10, vcc_lo
	v_lshlrev_b64_e32 v[9:10], 2, v[27:28]
	s_delay_alu instid0(VALU_DEP_4) | instskip(SKIP_3) | instid1(VALU_DEP_4)
	v_add_co_u32 v24, vcc_lo, v18, v24
	v_lshlrev_b64_e32 v[26:27], 2, v[30:31]
	s_wait_alu 0xfffd
	v_add_co_ci_u32_e32 v25, vcc_lo, v19, v25, vcc_lo
	v_add_co_u32 v28, vcc_lo, v18, v9
	s_wait_alu 0xfffd
	v_add_co_ci_u32_e32 v29, vcc_lo, v19, v10, vcc_lo
	v_add_co_u32 v26, vcc_lo, v18, v26
	s_wait_alu 0xfffd
	v_add_co_ci_u32_e32 v27, vcc_lo, v19, v27, vcc_lo
	s_clause 0x7
	global_load_b32 v7, v[7:8], off
	global_load_b32 v5, v[5:6], off
	;; [unrolled: 1-line block ×8, first 2 shown]
                                        ; implicit-def: $vgpr22
                                        ; implicit-def: $vgpr20
                                        ; implicit-def: $vgpr23
                                        ; implicit-def: $vgpr21
	s_and_saveexec_b32 s14, s0
	s_cbranch_execz .LBB0_15
; %bb.14:
	v_or_b32_e32 v28, 32, v11
	v_add_nc_u32_e32 v30, 0x48, v11
	v_or_b32_e32 v31, 0x70, v11
	s_delay_alu instid0(VALU_DEP_3) | instskip(NEXT) | instid1(VALU_DEP_3)
	v_mad_co_u64_u32 v[20:21], null, s4, v28, 0
	v_mad_co_u64_u32 v[22:23], null, s4, v30, 0
	s_delay_alu instid0(VALU_DEP_3) | instskip(NEXT) | instid1(VALU_DEP_2)
	v_mad_co_u64_u32 v[24:25], null, s4, v31, 0
	v_mad_co_u64_u32 v[28:29], null, s5, v28, v[21:22]
	s_delay_alu instid0(VALU_DEP_1) | instskip(NEXT) | instid1(VALU_DEP_3)
	v_mov_b32_e32 v21, v28
	v_mad_co_u64_u32 v[29:30], null, s5, v30, v[23:24]
	v_add_nc_u32_e32 v32, 0x98, v11
	s_delay_alu instid0(VALU_DEP_3) | instskip(NEXT) | instid1(VALU_DEP_3)
	v_lshlrev_b64_e32 v[20:21], 2, v[20:21]
	v_mov_b32_e32 v23, v29
	s_delay_alu instid0(VALU_DEP_3) | instskip(NEXT) | instid1(VALU_DEP_3)
	v_mad_co_u64_u32 v[26:27], null, s4, v32, 0
	v_add_co_u32 v20, vcc_lo, v18, v20
	s_delay_alu instid0(VALU_DEP_3) | instskip(SKIP_2) | instid1(VALU_DEP_4)
	v_lshlrev_b64_e32 v[22:23], 2, v[22:23]
	s_wait_alu 0xfffd
	v_add_co_ci_u32_e32 v21, vcc_lo, v19, v21, vcc_lo
	v_mad_co_u64_u32 v[30:31], null, s5, v31, v[25:26]
	v_mad_co_u64_u32 v[31:32], null, s5, v32, v[27:28]
	s_delay_alu instid0(VALU_DEP_4) | instskip(SKIP_2) | instid1(VALU_DEP_4)
	v_add_co_u32 v22, vcc_lo, v18, v22
	s_wait_alu 0xfffd
	v_add_co_ci_u32_e32 v23, vcc_lo, v19, v23, vcc_lo
	v_mov_b32_e32 v25, v30
	s_delay_alu instid0(VALU_DEP_4) | instskip(NEXT) | instid1(VALU_DEP_2)
	v_mov_b32_e32 v27, v31
	v_lshlrev_b64_e32 v[24:25], 2, v[24:25]
	s_delay_alu instid0(VALU_DEP_2) | instskip(NEXT) | instid1(VALU_DEP_2)
	v_lshlrev_b64_e32 v[26:27], 2, v[26:27]
	v_add_co_u32 v24, vcc_lo, v18, v24
	s_wait_alu 0xfffd
	s_delay_alu instid0(VALU_DEP_3) | instskip(NEXT) | instid1(VALU_DEP_3)
	v_add_co_ci_u32_e32 v25, vcc_lo, v19, v25, vcc_lo
	v_add_co_u32 v18, vcc_lo, v18, v26
	s_wait_alu 0xfffd
	v_add_co_ci_u32_e32 v19, vcc_lo, v19, v27, vcc_lo
	s_clause 0x3
	global_load_b32 v21, v[20:21], off
	global_load_b32 v20, v[22:23], off
	;; [unrolled: 1-line block ×4, first 2 shown]
.LBB0_15:
	s_wait_alu 0xfffe
	s_or_b32 exec_lo, exec_lo, s14
	s_cbranch_execz .LBB0_17
	s_branch .LBB0_24
.LBB0_16:
                                        ; implicit-def: $vgpr10
                                        ; implicit-def: $vgpr5
                                        ; implicit-def: $vgpr17
                                        ; implicit-def: $vgpr7
                                        ; implicit-def: $vgpr9
                                        ; implicit-def: $vgpr6
                                        ; implicit-def: $vgpr2
                                        ; implicit-def: $vgpr8
                                        ; implicit-def: $vgpr22
                                        ; implicit-def: $vgpr20
                                        ; implicit-def: $vgpr23
                                        ; implicit-def: $vgpr21
                                        ; implicit-def: $vgpr16
.LBB0_17:
	s_mov_b32 s0, exec_lo
                                        ; implicit-def: $vgpr16
	v_cmpx_le_u64_e64 s[2:3], v[3:4]
	s_wait_alu 0xfffe
	s_xor_b32 s0, exec_lo, s0
; %bb.18:
	v_add_nc_u32_e32 v16, 16, v11
                                        ; implicit-def: $vgpr1
; %bb.19:
	s_wait_alu 0xfffe
	s_or_saveexec_b32 s0, s0
                                        ; implicit-def: $vgpr10
                                        ; implicit-def: $vgpr5
                                        ; implicit-def: $vgpr17
                                        ; implicit-def: $vgpr7
                                        ; implicit-def: $vgpr9
                                        ; implicit-def: $vgpr6
                                        ; implicit-def: $vgpr2
                                        ; implicit-def: $vgpr8
                                        ; implicit-def: $vgpr22
                                        ; implicit-def: $vgpr20
                                        ; implicit-def: $vgpr23
                                        ; implicit-def: $vgpr21
	s_wait_alu 0xfffe
	s_xor_b32 exec_lo, exec_lo, s0
	s_cbranch_execz .LBB0_23
; %bb.20:
	s_wait_loadcnt 0x2
	v_mad_co_u64_u32 v[5:6], null, s6, v15, 0
	v_mad_co_u64_u32 v[7:8], null, s4, v11, 0
	s_wait_loadcnt 0x0
	v_mad_co_u64_u32 v[9:10], null, s4, v13, 0
	v_mad_co_u64_u32 v[19:20], null, s4, v14, 0
	s_delay_alu instid0(VALU_DEP_4) | instskip(NEXT) | instid1(VALU_DEP_4)
	v_dual_mov_b32 v2, v6 :: v_dual_add_nc_u32 v33, 0x88, v11
	v_mov_b32_e32 v6, v8
	s_lshl_b64 s[14:15], s[10:11], 2
	v_or_b32_e32 v32, 0x60, v11
	s_delay_alu instid0(VALU_DEP_3) | instskip(SKIP_4) | instid1(VALU_DEP_2)
	v_mad_co_u64_u32 v[16:17], null, s7, v15, v[2:3]
	v_mov_b32_e32 v2, v10
	v_mad_co_u64_u32 v[17:18], null, s5, v11, v[6:7]
	s_wait_alu 0xfffe
	s_add_nc_u64 s[14:15], s[12:13], s[14:15]
	v_mad_co_u64_u32 v[21:22], null, s5, v13, v[2:3]
	s_delay_alu instid0(VALU_DEP_4) | instskip(SKIP_3) | instid1(VALU_DEP_4)
	v_mov_b32_e32 v6, v16
	v_mov_b32_e32 v2, v20
	v_mad_co_u64_u32 v[22:23], null, s4, v12, 0
	v_mov_b32_e32 v8, v17
	v_lshlrev_b64_e32 v[5:6], 2, v[5:6]
	s_delay_alu instid0(VALU_DEP_4) | instskip(SKIP_1) | instid1(VALU_DEP_4)
	v_mad_co_u64_u32 v[17:18], null, s5, v14, v[2:3]
	v_mov_b32_e32 v10, v21
	v_lshlrev_b64_e32 v[7:8], 2, v[7:8]
	v_mov_b32_e32 v2, v23
	s_wait_alu 0xfffe
	v_add_co_u32 v16, vcc_lo, s14, v5
	s_wait_alu 0xfffd
	v_add_co_ci_u32_e32 v18, vcc_lo, s15, v6, vcc_lo
	v_lshlrev_b64_e32 v[5:6], 2, v[9:10]
	v_dual_mov_b32 v20, v17 :: v_dual_add_nc_u32 v17, 56, v11
	v_mad_co_u64_u32 v[9:10], null, s4, v1, 0
	v_mad_co_u64_u32 v[23:24], null, s5, v12, v[2:3]
	s_delay_alu instid0(VALU_DEP_3) | instskip(SKIP_1) | instid1(VALU_DEP_4)
	v_mad_co_u64_u32 v[24:25], null, s4, v17, 0
	v_add_co_u32 v7, vcc_lo, v16, v7
	v_mov_b32_e32 v2, v10
	v_lshlrev_b64_e32 v[19:20], 2, v[19:20]
	s_wait_alu 0xfffd
	v_add_co_ci_u32_e32 v8, vcc_lo, v18, v8, vcc_lo
	v_add_co_u32 v5, vcc_lo, v16, v5
	v_mad_co_u64_u32 v[26:27], null, s5, v1, v[2:3]
	v_mov_b32_e32 v2, v25
	v_mad_co_u64_u32 v[27:28], null, s4, v32, 0
	v_lshlrev_b64_e32 v[21:22], 2, v[22:23]
	s_wait_alu 0xfffd
	v_add_co_ci_u32_e32 v6, vcc_lo, v18, v6, vcc_lo
	v_mad_co_u64_u32 v[29:30], null, s5, v17, v[2:3]
	v_mad_co_u64_u32 v[30:31], null, s4, v33, 0
	v_mov_b32_e32 v2, v28
	v_mov_b32_e32 v10, v26
	v_add_co_u32 v19, vcc_lo, v16, v19
	v_mov_b32_e32 v25, v29
	s_delay_alu instid0(VALU_DEP_4)
	v_mad_co_u64_u32 v[28:29], null, s5, v32, v[2:3]
	v_mov_b32_e32 v2, v31
	v_lshlrev_b64_e32 v[9:10], 2, v[9:10]
	s_wait_alu 0xfffd
	v_add_co_ci_u32_e32 v20, vcc_lo, v18, v20, vcc_lo
	v_add_co_u32 v21, vcc_lo, v16, v21
	v_mad_co_u64_u32 v[31:32], null, s5, v33, v[2:3]
	s_wait_alu 0xfffd
	v_add_co_ci_u32_e32 v22, vcc_lo, v18, v22, vcc_lo
	v_lshlrev_b64_e32 v[23:24], 2, v[24:25]
	v_add_co_u32 v25, vcc_lo, v16, v9
	s_wait_alu 0xfffd
	v_add_co_ci_u32_e32 v26, vcc_lo, v18, v10, vcc_lo
	v_lshlrev_b64_e32 v[9:10], 2, v[27:28]
	s_delay_alu instid0(VALU_DEP_4) | instskip(SKIP_3) | instid1(VALU_DEP_4)
	v_add_co_u32 v23, vcc_lo, v16, v23
	v_lshlrev_b64_e32 v[27:28], 2, v[30:31]
	s_wait_alu 0xfffd
	v_add_co_ci_u32_e32 v24, vcc_lo, v18, v24, vcc_lo
	v_add_co_u32 v29, vcc_lo, v16, v9
	s_wait_alu 0xfffd
	v_add_co_ci_u32_e32 v30, vcc_lo, v18, v10, vcc_lo
	v_add_co_u32 v27, vcc_lo, v16, v27
	s_wait_alu 0xfffd
	v_add_co_ci_u32_e32 v28, vcc_lo, v18, v28, vcc_lo
	s_clause 0x7
	global_load_b32 v7, v[7:8], off
	global_load_b32 v5, v[5:6], off
	;; [unrolled: 1-line block ×8, first 2 shown]
	s_mov_b32 s14, exec_lo
                                        ; implicit-def: $vgpr22
                                        ; implicit-def: $vgpr20
                                        ; implicit-def: $vgpr23
                                        ; implicit-def: $vgpr21
	v_cmpx_gt_u32_e32 0x60, v0
	s_cbranch_execz .LBB0_22
; %bb.21:
	v_or_b32_e32 v27, 32, v11
	v_add_nc_u32_e32 v29, 0x48, v11
	v_or_b32_e32 v30, 0x70, v11
	s_delay_alu instid0(VALU_DEP_3) | instskip(NEXT) | instid1(VALU_DEP_3)
	v_mad_co_u64_u32 v[19:20], null, s4, v27, 0
	v_mad_co_u64_u32 v[21:22], null, s4, v29, 0
	s_delay_alu instid0(VALU_DEP_3) | instskip(NEXT) | instid1(VALU_DEP_2)
	v_mad_co_u64_u32 v[23:24], null, s4, v30, 0
	v_mad_co_u64_u32 v[27:28], null, s5, v27, v[20:21]
	s_delay_alu instid0(VALU_DEP_1) | instskip(NEXT) | instid1(VALU_DEP_3)
	v_mov_b32_e32 v20, v27
	v_mad_co_u64_u32 v[28:29], null, s5, v29, v[22:23]
	v_add_nc_u32_e32 v31, 0x98, v11
	s_delay_alu instid0(VALU_DEP_3) | instskip(NEXT) | instid1(VALU_DEP_3)
	v_lshlrev_b64_e32 v[19:20], 2, v[19:20]
	v_mov_b32_e32 v22, v28
	s_delay_alu instid0(VALU_DEP_3) | instskip(NEXT) | instid1(VALU_DEP_3)
	v_mad_co_u64_u32 v[25:26], null, s4, v31, 0
	v_add_co_u32 v19, vcc_lo, v16, v19
	s_delay_alu instid0(VALU_DEP_3) | instskip(SKIP_2) | instid1(VALU_DEP_4)
	v_lshlrev_b64_e32 v[21:22], 2, v[21:22]
	s_wait_alu 0xfffd
	v_add_co_ci_u32_e32 v20, vcc_lo, v18, v20, vcc_lo
	v_mad_co_u64_u32 v[29:30], null, s5, v30, v[24:25]
	v_mad_co_u64_u32 v[30:31], null, s5, v31, v[26:27]
	s_delay_alu instid0(VALU_DEP_4) | instskip(SKIP_2) | instid1(VALU_DEP_4)
	v_add_co_u32 v27, vcc_lo, v16, v21
	s_wait_alu 0xfffd
	v_add_co_ci_u32_e32 v28, vcc_lo, v18, v22, vcc_lo
	v_mov_b32_e32 v24, v29
	s_delay_alu instid0(VALU_DEP_4) | instskip(NEXT) | instid1(VALU_DEP_2)
	v_mov_b32_e32 v26, v30
	v_lshlrev_b64_e32 v[23:24], 2, v[23:24]
	s_delay_alu instid0(VALU_DEP_2) | instskip(NEXT) | instid1(VALU_DEP_2)
	v_lshlrev_b64_e32 v[21:22], 2, v[25:26]
	v_add_co_u32 v23, vcc_lo, v16, v23
	s_wait_alu 0xfffd
	s_delay_alu instid0(VALU_DEP_3) | instskip(NEXT) | instid1(VALU_DEP_3)
	v_add_co_ci_u32_e32 v24, vcc_lo, v18, v24, vcc_lo
	v_add_co_u32 v25, vcc_lo, v16, v21
	s_wait_alu 0xfffd
	v_add_co_ci_u32_e32 v26, vcc_lo, v18, v22, vcc_lo
	s_clause 0x3
	global_load_b32 v21, v[19:20], off
	global_load_b32 v20, v[27:28], off
	;; [unrolled: 1-line block ×4, first 2 shown]
.LBB0_22:
	s_wait_alu 0xfffe
	s_or_b32 exec_lo, exec_lo, s14
	v_mov_b32_e32 v16, v1
.LBB0_23:
	s_or_b32 exec_lo, exec_lo, s0
.LBB0_24:
	s_wait_loadcnt 0x1
	v_pk_add_f16 v23, v21, v23 neg_lo:[0,1] neg_hi:[0,1]
	s_wait_loadcnt 0x0
	v_pk_add_f16 v1, v20, v22 neg_lo:[0,1] neg_hi:[0,1]
	v_pk_add_f16 v18, v7, v17 neg_lo:[0,1] neg_hi:[0,1]
	;; [unrolled: 1-line block ×4, first 2 shown]
	v_pk_fma_f16 v10, v21, 2.0, v23 op_sel_hi:[1,0,1] neg_lo:[0,0,1] neg_hi:[0,0,1]
	v_mul_u32_u24_e32 v21, 48, v11
	v_pk_fma_f16 v24, v7, 2.0, v18 op_sel_hi:[1,0,1] neg_lo:[0,0,1] neg_hi:[0,0,1]
	v_pk_fma_f16 v25, v5, 2.0, v22 op_sel_hi:[1,0,1] neg_lo:[0,0,1] neg_hi:[0,0,1]
	;; [unrolled: 1-line block ×3, first 2 shown]
	v_pk_add_f16 v17, v23, v1 op_sel:[0,1] op_sel_hi:[1,0] neg_lo:[0,1] neg_hi:[0,1]
	v_lshl_add_u32 v7, v21, 2, 0
	v_pk_add_f16 v20, v23, v1 op_sel:[0,1] op_sel_hi:[1,0]
	v_pk_add_f16 v21, v24, v25 neg_lo:[0,1] neg_hi:[0,1]
	v_pk_add_f16 v1, v18, v22 op_sel:[0,1] op_sel_hi:[1,0] neg_lo:[0,1] neg_hi:[0,1]
	v_pk_add_f16 v22, v18, v22 op_sel:[0,1] op_sel_hi:[1,0]
	v_lshrrev_b32_e32 v26, 16, v24
	v_pk_add_f16 v28, v8, v2 neg_lo:[0,1] neg_hi:[0,1]
	v_lshrrev_b32_e32 v27, 16, v21
	s_mov_b32 s0, 0
	v_bfi_b32 v22, 0xffff, v1, v22
	s_wait_alu 0xfffe
	v_mad_co_u64_u32 v[1:2], null, 0xc0, v16, s[0:1]
	v_fma_f16 v26, v26, 2.0, -v27
	v_alignbit_b32 v27, s0, v9, 16
	v_alignbit_b32 v2, s0, v28, 16
	v_fma_f16 v24, v24, 2.0, -v21
	v_pk_fma_f16 v8, v8, 2.0, v28 op_sel_hi:[1,0,1] neg_lo:[0,0,1] neg_hi:[0,0,1]
	v_pk_fma_f16 v6, v6, 2.0, v9 op_sel_hi:[1,0,1] neg_lo:[0,0,1] neg_hi:[0,0,1]
	v_pk_add_f16 v27, v28, v27 neg_lo:[0,1] neg_hi:[0,1]
	v_lshrrev_b32_e32 v29, 16, v28
	v_pk_add_f16 v2, v2, v9
	v_lshlrev_b32_e32 v5, 2, v15
	v_lshlrev_b32_e32 v9, 16, v26
	v_and_b32_e32 v24, 0xffff, v24
	v_pk_add_f16 v6, v8, v6 neg_lo:[0,1] neg_hi:[0,1]
	v_fma_f16 v26, v28, 2.0, -v27
	v_fma_f16 v28, v29, 2.0, -v2
	v_add_nc_u32_e32 v25, v7, v5
	v_pk_fma_f16 v29, v18, 2.0, v22 op_sel_hi:[1,0,1] neg_lo:[0,0,1] neg_hi:[0,0,1]
	v_or_b32_e32 v9, v9, v24
	v_cmp_gt_u32_e64 s0, 0x60, v0
	v_lshrrev_b32_e32 v18, 16, v20
	v_add_nc_u32_e32 v24, v1, v5
	v_pk_fma_f16 v8, v8, 2.0, v6 op_sel_hi:[1,0,1] neg_lo:[0,0,1] neg_hi:[0,0,1]
	v_pack_b32_f16 v26, v26, v28
	v_pack_b32_f16 v2, v27, v2
	s_mov_b32 s14, exec_lo
	ds_store_2addr_b32 v25, v9, v29 offset1:12
	ds_store_2addr_b32 v25, v21, v22 offset0:24 offset1:36
	ds_store_2addr_b32 v24, v8, v26 offset1:12
	ds_store_2addr_b32 v24, v6, v2 offset0:24 offset1:36
	v_cmpx_lt_u32_e32 0x5f, v0
	s_wait_alu 0xfffe
	s_xor_b32 s14, exec_lo, s14
; %bb.25:
                                        ; implicit-def: $vgpr20
                                        ; implicit-def: $vgpr23
; %bb.26:
	s_wait_alu 0xfffe
	s_or_saveexec_b32 s14, s14
	v_pk_add_f16 v19, v10, v19 neg_lo:[0,1] neg_hi:[0,1]
	s_wait_alu 0xfffe
	s_xor_b32 exec_lo, exec_lo, s14
	s_cbranch_execz .LBB0_28
; %bb.27:
	v_bfi_b32 v0, 0xffff, v17, v20
	v_lshl_add_u32 v2, v15, 2, v7
	v_pk_fma_f16 v6, v10, 2.0, v19 op_sel_hi:[1,0,1] neg_lo:[0,0,1] neg_hi:[0,0,1]
	s_delay_alu instid0(VALU_DEP_3) | instskip(NEXT) | instid1(VALU_DEP_3)
	v_pk_fma_f16 v8, v23, 2.0, v0 op_sel_hi:[1,0,1] neg_lo:[0,0,1] neg_hi:[0,0,1]
	v_add_nc_u32_e32 v2, 0x1800, v2
	ds_store_2addr_b32 v2, v6, v8 offset1:12
	ds_store_2addr_b32 v2, v19, v0 offset0:24 offset1:36
.LBB0_28:
	s_or_b32 exec_lo, exec_lo, s14
	v_and_b32_e32 v10, 3, v11
	global_wb scope:SCOPE_SE
	s_wait_dscnt 0x0
	s_barrier_signal -1
	s_barrier_wait -1
	global_inv scope:SCOPE_SE
	v_mul_u32_u24_e32 v0, 9, v10
	v_mul_lo_u32 v2, 0xffffff70, v16
	v_lshrrev_b32_e32 v6, 2, v11
	s_mov_b32 s14, 0
	s_delay_alu instid0(VALU_DEP_3)
	v_lshlrev_b32_e32 v0, 2, v0
	s_clause 0x2
	global_load_b128 v[20:23], v0, s[16:17]
	global_load_b128 v[24:27], v0, s[16:17] offset:16
	global_load_b32 v30, v0, s[16:17] offset:32
	v_mul_i32_i24_e32 v0, 0xffffff70, v11
	v_mul_u32_u24_e32 v28, 40, v6
	v_add3_u32 v31, v1, v2, v5
	s_delay_alu instid0(VALU_DEP_3) | instskip(NEXT) | instid1(VALU_DEP_3)
	v_add3_u32 v0, v7, v0, v5
	v_or_b32_e32 v10, v28, v10
	ds_load_2addr_stride64_b32 v[1:2], v0 offset1:6
	ds_load_2addr_stride64_b32 v[6:7], v0 offset0:15 offset1:18
	ds_load_2addr_stride64_b32 v[8:9], v0 offset0:21 offset1:24
	;; [unrolled: 1-line block ×3, first 2 shown]
	ds_load_b32 v32, v31
	ds_load_b32 v33, v0 offset:6912
	v_mul_u32_u24_e32 v10, 48, v10
	v_add_nc_u32_e32 v34, 0x80, v0
	global_wb scope:SCOPE_SE
	s_wait_loadcnt_dscnt 0x0
	s_barrier_signal -1
	s_barrier_wait -1
	v_add3_u32 v5, 0, v10, v5
	global_inv scope:SCOPE_SE
	v_add_nc_u32_e32 v10, 0x400, v5
	v_lshrrev_b32_e32 v39, 16, v2
	v_lshrrev_b32_e32 v36, 16, v7
	;; [unrolled: 1-line block ×19, first 2 shown]
	v_mul_f16_e32 v54, v45, v44
	v_mul_f16_e32 v45, v45, v32
	;; [unrolled: 1-line block ×18, first 2 shown]
	v_fma_f16 v32, v20, v32, -v54
	v_fmac_f16_e32 v45, v20, v44
	v_fma_f16 v2, v21, v2, -v55
	v_fmac_f16_e32 v46, v21, v39
	v_fma_f16 v20, v22, v28, -v56
	v_fma_f16 v21, v23, v29, -v57
	v_fmac_f16_e32 v48, v23, v41
	v_fma_f16 v6, v24, v6, -v58
	v_fmac_f16_e32 v49, v24, v42
	;; [unrolled: 2-line block ×5, first 2 shown]
	v_fmac_f16_e32 v47, v22, v40
	v_fma_f16 v22, v33, v30, -v62
	v_fmac_f16_e32 v53, v43, v30
	v_add_f16_e32 v23, v1, v2
	v_add_f16_e32 v24, v21, v7
	v_sub_f16_e32 v25, v46, v52
	v_sub_f16_e32 v27, v2, v21
	;; [unrolled: 1-line block ×3, first 2 shown]
	v_add_f16_e32 v29, v2, v9
	v_add_f16_e32 v36, v35, v46
	;; [unrolled: 1-line block ×3, first 2 shown]
	v_sub_f16_e32 v39, v46, v48
	v_add_f16_e32 v41, v46, v52
	v_sub_f16_e32 v42, v48, v46
	v_add_f16_e32 v44, v32, v20
	v_add_f16_e32 v46, v6, v8
	;; [unrolled: 1-line block ×5, first 2 shown]
	v_sub_f16_e32 v30, v21, v2
	v_sub_f16_e32 v33, v7, v9
	;; [unrolled: 1-line block ×7, first 2 shown]
	v_add_f16_e32 v61, v45, v47
	v_sub_f16_e32 v20, v20, v22
	v_sub_f16_e32 v63, v6, v8
	v_add_f16_e32 v21, v23, v21
	v_fma_f16 v23, -0.5, v24, v1
	v_add_f16_e32 v24, v27, v28
	v_fmac_f16_e32 v1, -0.5, v29
	v_add_f16_e32 v28, v36, v48
	v_fma_f16 v29, -0.5, v37, v35
	v_fmac_f16_e32 v35, -0.5, v41
	v_add_f16_e32 v6, v44, v6
	v_fma_f16 v36, -0.5, v46, v32
	v_fma_f16 v41, -0.5, v62, v45
	v_sub_f16_e32 v55, v49, v51
	v_fmac_f16_e32 v32, -0.5, v58
	v_fmac_f16_e32 v45, -0.5, v66
	v_sub_f16_e32 v43, v50, v52
	v_sub_f16_e32 v57, v22, v8
	;; [unrolled: 1-line block ×7, first 2 shown]
	v_add_f16_e32 v27, v30, v33
	v_add_f16_e32 v30, v39, v40
	v_add_f16_e32 v40, v61, v49
	v_add_f16_e32 v6, v6, v8
	v_fmamk_f16 v8, v54, 0x3b9c, v36
	v_fmamk_f16 v49, v20, 0xbb9c, v41
	v_sub_f16_e32 v26, v48, v50
	v_add_f16_e32 v28, v28, v50
	v_fmamk_f16 v48, v55, 0xbb9c, v32
	v_fmac_f16_e32 v32, 0x3b9c, v55
	v_fmamk_f16 v50, v63, 0x3b9c, v45
	v_fmac_f16_e32 v45, 0xbb9c, v63
	v_sub_f16_e32 v2, v2, v9
	v_fmac_f16_e32 v36, 0xbb9c, v54
	v_fmac_f16_e32 v41, 0x3b9c, v20
	v_add_f16_e32 v33, v42, v43
	v_add_f16_e32 v37, v56, v57
	;; [unrolled: 1-line block ×5, first 2 shown]
	v_fmamk_f16 v47, v38, 0x3b9c, v35
	v_fmac_f16_e32 v35, 0xbb9c, v38
	v_fmac_f16_e32 v8, 0x38b4, v55
	;; [unrolled: 1-line block ×3, first 2 shown]
	v_add_f16_e32 v39, v59, v60
	v_fmamk_f16 v21, v25, 0x3b9c, v23
	v_fmac_f16_e32 v23, 0xbb9c, v25
	v_fmamk_f16 v44, v26, 0xbb9c, v1
	v_fmac_f16_e32 v1, 0x3b9c, v26
	v_add_f16_e32 v40, v40, v51
	v_fmac_f16_e32 v48, 0x38b4, v54
	v_fmac_f16_e32 v32, 0xb8b4, v54
	v_fmac_f16_e32 v50, 0xb8b4, v20
	v_fmac_f16_e32 v45, 0x38b4, v20
	v_fmamk_f16 v46, v2, 0xbb9c, v29
	v_fmac_f16_e32 v29, 0x3b9c, v2
	v_fmac_f16_e32 v36, 0xb8b4, v55
	;; [unrolled: 1-line block ×3, first 2 shown]
	v_add_f16_e32 v7, v7, v9
	v_fmac_f16_e32 v47, 0xb8b4, v2
	v_fmac_f16_e32 v35, 0x38b4, v2
	v_add_f16_e32 v2, v6, v22
	v_fmac_f16_e32 v8, 0x34f2, v37
	v_fmac_f16_e32 v49, 0x34f2, v42
	;; [unrolled: 1-line block ×6, first 2 shown]
	v_add_f16_e32 v9, v28, v52
	v_add_f16_e32 v6, v40, v53
	v_fmac_f16_e32 v48, 0x34f2, v39
	v_fmac_f16_e32 v32, 0x34f2, v39
	;; [unrolled: 1-line block ×8, first 2 shown]
	v_add_f16_e32 v20, v7, v2
	v_sub_f16_e32 v2, v7, v2
	v_mul_f16_e32 v7, 0x38b4, v49
	v_mul_f16_e32 v26, 0xb8b4, v8
	v_fmac_f16_e32 v21, 0x34f2, v24
	v_fmac_f16_e32 v23, 0x34f2, v24
	;; [unrolled: 1-line block ×4, first 2 shown]
	v_add_f16_e32 v22, v9, v6
	v_sub_f16_e32 v6, v9, v6
	v_mul_f16_e32 v9, 0x3b9c, v50
	v_mul_f16_e32 v24, 0x34f2, v32
	;; [unrolled: 1-line block ×4, first 2 shown]
	v_fmac_f16_e32 v46, 0x34f2, v30
	v_fmac_f16_e32 v29, 0x34f2, v30
	v_mul_f16_e32 v25, 0x3a79, v36
	v_mul_f16_e32 v30, 0x3a79, v41
	v_fmac_f16_e32 v7, 0x3a79, v8
	v_fmac_f16_e32 v26, 0x3a79, v49
	;; [unrolled: 1-line block ×4, first 2 shown]
	v_pack_b32_f16 v2, v2, v6
	v_fmac_f16_e32 v9, 0x34f2, v48
	v_fma_f16 v6, v45, 0x3b9c, -v24
	v_fmac_f16_e32 v27, 0x34f2, v50
	v_fma_f16 v24, v32, 0xbb9c, -v28
	v_fma_f16 v8, v41, 0x38b4, -v25
	;; [unrolled: 1-line block ×3, first 2 shown]
	v_add_f16_e32 v28, v21, v7
	v_add_f16_e32 v37, v46, v26
	;; [unrolled: 1-line block ×8, first 2 shown]
	v_pack_b32_f16 v33, v20, v22
	v_sub_f16_e32 v7, v21, v7
	v_sub_f16_e32 v9, v44, v9
	;; [unrolled: 1-line block ×8, first 2 shown]
	v_pack_b32_f16 v8, v28, v37
	v_pack_b32_f16 v24, v30, v38
	v_pack_b32_f16 v25, v32, v39
	v_pack_b32_f16 v26, v36, v40
	v_pack_b32_f16 v1, v7, v1
	v_pack_b32_f16 v6, v9, v6
	v_pack_b32_f16 v7, v20, v21
	v_pack_b32_f16 v9, v22, v23
	ds_store_2addr_b32 v5, v33, v8 offset1:48
	ds_store_2addr_b32 v5, v24, v25 offset0:96 offset1:144
	ds_store_2addr_b32 v5, v26, v2 offset0:192 offset1:240
	;; [unrolled: 1-line block ×4, first 2 shown]
	global_wb scope:SCOPE_SE
	s_wait_dscnt 0x0
	s_barrier_signal -1
	s_barrier_wait -1
	global_inv scope:SCOPE_SE
	ds_load_2addr_stride64_b32 v[9:10], v34 offset0:7 offset1:10
	ds_load_2addr_stride64_b32 v[7:8], v0 offset0:15 offset1:18
	;; [unrolled: 1-line block ×3, first 2 shown]
	ds_load_b32 v39, v0
	ds_load_b32 v38, v31
	s_and_saveexec_b32 s15, s0
	s_cbranch_execz .LBB0_30
; %bb.29:
	v_add_nc_u32_e32 v1, 0x600, v0
	ds_load_b32 v20, v1
	ds_load_b32 v17, v0 offset:7296
	ds_load_b32 v22, v0 offset:3456
	;; [unrolled: 1-line block ×3, first 2 shown]
	s_wait_dscnt 0x3
	v_lshrrev_b32_e32 v21, 16, v20
	s_wait_dscnt 0x2
	v_lshrrev_b32_e32 v18, 16, v17
	;; [unrolled: 2-line block ×3, first 2 shown]
.LBB0_30:
	s_wait_alu 0xfffe
	s_or_b32 exec_lo, exec_lo, s15
	v_mul_lo_u32 v0, v3, v11
	v_mul_u32_u24_e32 v1, 3, v11
	v_mul_lo_u32 v2, v3, v13
	v_mul_lo_u32 v24, v3, v14
	;; [unrolled: 1-line block ×3, first 2 shown]
	s_wait_dscnt 0x4
	v_lshrrev_b32_e32 v76, 16, v9
	v_lshlrev_b32_e32 v1, 2, v1
	s_wait_dscnt 0x3
	v_lshrrev_b32_e32 v78, 16, v7
	v_and_b32_e32 v25, 0xff, v0
	v_lshrrev_b32_e32 v26, 6, v0
	v_lshrrev_b32_e32 v0, 14, v0
	v_and_b32_e32 v27, 0xff, v2
	v_lshrrev_b32_e32 v28, 6, v2
	v_lshrrev_b32_e32 v2, 14, v2
	global_load_b96 v[40:42], v1, s[16:17] offset:144
	v_lshlrev_b32_e32 v1, 2, v25
	v_and_b32_e32 v25, 0x3fc, v26
	v_and_b32_e32 v26, 0xff, v24
	v_lshrrev_b32_e32 v30, 6, v24
	v_lshrrev_b32_e32 v24, 14, v24
	v_and_b32_e32 v31, 0xff, v29
	v_lshrrev_b32_e32 v32, 6, v29
	v_lshrrev_b32_e32 v29, 14, v29
	v_and_b32_e32 v0, 0x3fc, v0
	v_lshlrev_b32_e32 v27, 2, v27
	v_and_b32_e32 v28, 0x3fc, v28
	v_and_b32_e32 v2, 0x3fc, v2
	v_lshlrev_b32_e32 v26, 2, v26
	v_and_b32_e32 v30, 0x3fc, v30
	;; [unrolled: 3-line block ×3, first 2 shown]
	v_and_b32_e32 v29, 0x3fc, v29
	s_clause 0xb
	global_load_b32 v43, v1, s[8:9]
	global_load_b32 v44, v25, s[8:9] offset:1024
	global_load_b32 v48, v0, s[8:9] offset:2048
	global_load_b32 v49, v27, s[8:9]
	global_load_b32 v50, v28, s[8:9] offset:1024
	global_load_b32 v51, v2, s[8:9] offset:2048
	;; [unrolled: 3-line block ×4, first 2 shown]
	v_and_b32_e32 v0, 0xff, v16
	v_or_b32_e32 v24, 32, v11
	s_and_not1_b32 vcc_lo, exec_lo, s1
	s_delay_alu instid0(VALU_DEP_2) | instskip(NEXT) | instid1(VALU_DEP_2)
	v_mul_lo_u16 v0, 0xcd, v0
	v_mul_lo_u16 v25, v24, 13
	s_delay_alu instid0(VALU_DEP_2) | instskip(NEXT) | instid1(VALU_DEP_1)
	v_lshrrev_b16 v29, 13, v0
	v_mul_lo_u16 v0, v29, 40
	s_delay_alu instid0(VALU_DEP_1) | instskip(NEXT) | instid1(VALU_DEP_1)
	v_sub_nc_u16 v0, v16, v0
	v_and_b32_e32 v0, 0xff, v0
	s_delay_alu instid0(VALU_DEP_1) | instskip(SKIP_2) | instid1(VALU_DEP_3)
	v_mul_u32_u24_e32 v1, 3, v0
	v_add_nc_u32_e32 v2, 40, v0
	v_add_nc_u32_e32 v26, 0x50, v0
	v_lshlrev_b32_e32 v1, 2, v1
	s_delay_alu instid0(VALU_DEP_3) | instskip(NEXT) | instid1(VALU_DEP_3)
	v_mul_lo_u32 v2, v3, v2
	v_mul_lo_u32 v26, v3, v26
	global_load_b96 v[45:47], v1, s[16:17] offset:144
	v_mul_lo_u32 v1, v3, v0
	v_add_nc_u32_e32 v0, 0x78, v0
	v_and_b32_e32 v30, 0xff, v2
	v_lshrrev_b32_e32 v31, 6, v2
	v_lshrrev_b32_e32 v2, 14, v2
	s_delay_alu instid0(VALU_DEP_4)
	v_mul_lo_u32 v0, v3, v0
	v_and_b32_e32 v32, 0xff, v26
	v_and_b32_e32 v27, 0xff, v1
	v_lshrrev_b32_e32 v28, 6, v1
	v_lshrrev_b32_e32 v1, 14, v1
	v_lshrrev_b32_e32 v33, 6, v26
	v_lshrrev_b32_e32 v26, 14, v26
	v_lshlrev_b32_e32 v27, 2, v27
	v_and_b32_e32 v28, 0x3fc, v28
	v_and_b32_e32 v1, 0x3fc, v1
	;; [unrolled: 1-line block ×3, first 2 shown]
	v_lshrrev_b32_e32 v35, 6, v0
	v_lshrrev_b32_e32 v0, 14, v0
	s_clause 0x2
	global_load_b32 v58, v27, s[8:9]
	global_load_b32 v59, v28, s[8:9] offset:1024
	global_load_b32 v60, v1, s[8:9] offset:2048
	v_lshlrev_b32_e32 v1, 2, v30
	v_and_b32_e32 v27, 0x3fc, v31
	v_and_b32_e32 v2, 0x3fc, v2
	v_lshlrev_b32_e32 v28, 2, v32
	v_and_b32_e32 v30, 0x3fc, v33
	v_and_b32_e32 v0, 0x3fc, v0
	;; [unrolled: 1-line block ×3, first 2 shown]
	v_lshlrev_b32_e32 v31, 2, v34
	v_and_b32_e32 v32, 0x3fc, v35
	s_clause 0x8
	global_load_b32 v61, v1, s[8:9]
	global_load_b32 v62, v27, s[8:9] offset:1024
	global_load_b32 v63, v2, s[8:9] offset:2048
	global_load_b32 v64, v28, s[8:9]
	global_load_b32 v65, v30, s[8:9] offset:1024
	global_load_b32 v66, v26, s[8:9] offset:2048
	;; [unrolled: 3-line block ×3, first 2 shown]
	v_lshrrev_b16 v0, 9, v25
	s_delay_alu instid0(VALU_DEP_1) | instskip(NEXT) | instid1(VALU_DEP_1)
	v_mul_lo_u16 v0, v0, 40
	v_sub_nc_u16 v0, v24, v0
	s_delay_alu instid0(VALU_DEP_1) | instskip(NEXT) | instid1(VALU_DEP_1)
	v_and_b32_e32 v0, 0xff, v0
	v_add_nc_u32_e32 v25, 40, v0
	v_add_nc_u32_e32 v26, 0x50, v0
	v_mul_u32_u24_e32 v1, 3, v0
	v_mul_lo_u32 v2, v3, v0
	v_add_nc_u32_e32 v0, 0x78, v0
	v_mul_lo_u32 v25, v3, v25
	v_mul_lo_u32 v26, v3, v26
	v_lshlrev_b32_e32 v1, 2, v1
	s_delay_alu instid0(VALU_DEP_4)
	v_mul_lo_u32 v31, v3, v0
	v_and_b32_e32 v27, 0xff, v2
	v_lshrrev_b32_e32 v28, 6, v2
	v_lshrrev_b32_e32 v30, 14, v2
	v_and_b32_e32 v32, 0xff, v25
	v_lshrrev_b32_e32 v33, 6, v25
	v_lshrrev_b32_e32 v25, 14, v25
	;; [unrolled: 3-line block ×3, first 2 shown]
	v_lshlrev_b32_e32 v27, 2, v27
	v_and_b32_e32 v36, 0xff, v31
	v_lshrrev_b32_e32 v37, 6, v31
	v_lshrrev_b32_e32 v31, 14, v31
	v_and_b32_e32 v28, 0x3fc, v28
	v_and_b32_e32 v30, 0x3fc, v30
	v_lshlrev_b32_e32 v32, 2, v32
	v_and_b32_e32 v70, 0x3fc, v33
	v_and_b32_e32 v25, 0x3fc, v25
	;; [unrolled: 1-line block ×3, first 2 shown]
	global_load_b96 v[0:2], v1, s[16:17] offset:144
	v_lshlrev_b32_e32 v71, 2, v34
	v_and_b32_e32 v72, 0x3fc, v35
	v_lshlrev_b32_e32 v73, 2, v36
	v_and_b32_e32 v74, 0x3fc, v37
	v_and_b32_e32 v75, 0x3fc, v31
	s_clause 0xb
	global_load_b32 v37, v27, s[8:9]
	global_load_b32 v36, v28, s[8:9] offset:1024
	global_load_b32 v33, v30, s[8:9] offset:2048
	global_load_b32 v35, v32, s[8:9]
	global_load_b32 v34, v70, s[8:9] offset:1024
	global_load_b32 v32, v25, s[8:9] offset:2048
	;; [unrolled: 3-line block ×4, first 2 shown]
	s_wait_dscnt 0x2
	v_lshrrev_b32_e32 v75, 16, v5
	s_wait_dscnt 0x1
	v_lshrrev_b32_e32 v70, 16, v39
	v_lshrrev_b32_e32 v72, 16, v6
	;; [unrolled: 1-line block ×4, first 2 shown]
	s_wait_dscnt 0x0
	v_lshrrev_b32_e32 v71, 16, v38
	s_wait_loadcnt 0x26
	v_lshrrev_b32_e32 v77, 16, v40
	v_lshrrev_b32_e32 v79, 16, v41
	;; [unrolled: 1-line block ×3, first 2 shown]
	s_delay_alu instid0(VALU_DEP_3) | instskip(SKIP_1) | instid1(VALU_DEP_4)
	v_mul_f16_e32 v81, v77, v76
	v_mul_f16_e32 v77, v77, v9
	;; [unrolled: 1-line block ×6, first 2 shown]
	s_wait_loadcnt 0x25
	v_lshrrev_b32_e32 v84, 16, v43
	s_wait_loadcnt 0x24
	v_lshrrev_b32_e32 v85, 16, v44
	;; [unrolled: 2-line block ×8, first 2 shown]
	v_fma_f16 v9, v40, v9, -v81
	v_fmac_f16_e32 v77, v40, v76
	v_fma_f16 v7, v41, v7, -v82
	v_fmac_f16_e32 v79, v41, v78
	v_fma_f16 v5, v42, v5, -v83
	v_fmac_f16_e32 v80, v42, v75
	v_mul_f16_e32 v40, v84, v85
	v_mul_f16_e32 v41, v43, v85
	;; [unrolled: 1-line block ×4, first 2 shown]
	v_lshrrev_b32_e32 v89, 16, v51
	s_wait_loadcnt 0x1a
	v_lshrrev_b32_e32 v95, 16, v57
	v_mul_f16_e32 v75, v49, v88
	v_mul_f16_e32 v76, v90, v91
	;; [unrolled: 1-line block ×3, first 2 shown]
	v_sub_f16_e32 v7, v39, v7
	v_sub_f16_e32 v79, v70, v79
	;; [unrolled: 1-line block ×4, first 2 shown]
	v_fma_f16 v40, v43, v44, -v40
	v_fmac_f16_e32 v41, v84, v44
	v_fma_f16 v42, v49, v50, -v42
	v_fma_f16 v44, v55, v56, -v81
	v_lshrrev_b32_e32 v86, 16, v48
	v_lshrrev_b32_e32 v92, 16, v54
	v_mul_f16_e32 v78, v52, v91
	v_fmac_f16_e32 v75, v87, v50
	v_fma_f16 v43, v52, v53, -v76
	v_fmac_f16_e32 v82, v93, v56
	v_fma_f16 v49, v70, 2.0, -v79
	v_fma_f16 v9, v9, 2.0, -v5
	;; [unrolled: 1-line block ×3, first 2 shown]
	v_sub_f16_e32 v52, v7, v80
	v_add_f16_e32 v5, v79, v5
	v_mul_f16_e32 v70, v42, v89
	v_mul_f16_e32 v81, v44, v95
	v_fmac_f16_e32 v78, v90, v53
	v_fma_f16 v39, v39, 2.0, -v7
	v_mul_f16_e32 v53, v41, v86
	v_mul_f16_e32 v55, v40, v86
	v_mul_f16_e32 v56, v75, v89
	v_mul_f16_e32 v77, v43, v92
	v_mul_f16_e32 v80, v82, v95
	v_sub_f16_e32 v50, v49, v50
	v_fma_f16 v83, v7, 2.0, -v52
	v_fma_f16 v79, v79, 2.0, -v5
	v_fmac_f16_e32 v70, v51, v75
	v_fmac_f16_e32 v81, v57, v82
	v_mul_f16_e32 v76, v78, v92
	v_sub_f16_e32 v9, v39, v9
	v_fma_f16 v53, v48, v40, -v53
	v_fmac_f16_e32 v55, v48, v41
	v_fma_f16 v41, v51, v42, -v56
	v_fmac_f16_e32 v77, v54, v78
	v_fma_f16 v51, v57, v44, -v80
	s_wait_loadcnt 0x19
	v_lshrrev_b32_e32 v42, 16, v45
	v_lshrrev_b32_e32 v44, 16, v46
	;; [unrolled: 1-line block ×3, first 2 shown]
	v_fma_f16 v56, v49, 2.0, -v50
	v_mul_f16_e32 v49, v79, v70
	v_mul_f16_e32 v40, v83, v70
	v_mul_f16_e32 v7, v52, v81
	v_fma_f16 v43, v54, v43, -v76
	v_fma_f16 v54, v39, 2.0, -v9
	v_mul_f16_e32 v57, v50, v77
	v_mul_f16_e32 v39, v9, v77
	;; [unrolled: 1-line block ×10, first 2 shown]
	v_fma_f16 v44, v83, v41, -v49
	v_fmac_f16_e32 v40, v79, v41
	v_fmac_f16_e32 v7, v5, v51
	s_wait_loadcnt 0x18
	v_lshrrev_b32_e32 v5, 16, v58
	s_wait_loadcnt 0x17
	v_lshrrev_b32_e32 v41, 16, v59
	v_mul_f16_e32 v48, v54, v55
	v_fma_f16 v42, v9, v43, -v57
	v_fma_f16 v9, v52, v51, -v70
	;; [unrolled: 1-line block ×3, first 2 shown]
	v_fmac_f16_e32 v76, v45, v74
	v_fma_f16 v8, v46, v8, -v77
	v_fmac_f16_e32 v78, v46, v73
	v_fma_f16 v6, v47, v6, -v80
	;; [unrolled: 2-line block ×3, first 2 shown]
	v_mul_f16_e32 v45, v5, v41
	v_mul_f16_e32 v41, v58, v41
	s_wait_loadcnt 0x15
	v_lshrrev_b32_e32 v46, 16, v61
	s_wait_loadcnt 0x14
	v_lshrrev_b32_e32 v47, 16, v62
	;; [unrolled: 2-line block ×6, first 2 shown]
	v_fmac_f16_e32 v39, v50, v43
	v_lshrrev_b32_e32 v43, 16, v60
	v_sub_f16_e32 v8, v38, v8
	v_sub_f16_e32 v57, v71, v78
	;; [unrolled: 1-line block ×4, first 2 shown]
	v_fma_f16 v45, v58, v59, -v45
	v_fmac_f16_e32 v41, v5, v59
	v_mul_f16_e32 v5, v46, v47
	v_mul_f16_e32 v47, v61, v47
	;; [unrolled: 1-line block ×5, first 2 shown]
	v_fmac_f16_e32 v48, v56, v53
	v_lshrrev_b32_e32 v50, 16, v63
	v_lshrrev_b32_e32 v53, 16, v66
	s_wait_loadcnt 0xd
	v_lshrrev_b32_e32 v56, 16, v69
	v_mul_f16_e32 v55, v67, v55
	v_fma_f16 v38, v38, 2.0, -v8
	v_fma_f16 v71, v71, 2.0, -v57
	v_fma_f16 v10, v10, 2.0, -v6
	v_fma_f16 v72, v76, 2.0, -v70
	v_sub_f16_e32 v70, v8, v70
	v_mul_f16_e32 v73, v41, v43
	v_mul_f16_e32 v43, v45, v43
	v_fma_f16 v5, v61, v62, -v5
	v_fmac_f16_e32 v47, v46, v62
	v_fma_f16 v46, v64, v65, -v58
	v_fmac_f16_e32 v52, v51, v65
	v_fma_f16 v51, v67, v68, -v59
	v_add_f16_e32 v6, v57, v6
	v_fmac_f16_e32 v55, v54, v68
	v_sub_f16_e32 v54, v38, v10
	v_sub_f16_e32 v58, v71, v72
	v_fma_f16 v59, v8, 2.0, -v70
	v_fmac_f16_e32 v43, v60, v41
	v_mul_f16_e32 v8, v47, v50
	v_mul_f16_e32 v10, v5, v50
	;; [unrolled: 1-line block ×5, first 2 shown]
	v_fma_f16 v57, v57, 2.0, -v6
	v_fma_f16 v61, v60, v45, -v73
	v_mul_f16_e32 v45, v55, v56
	v_fma_f16 v38, v38, 2.0, -v54
	v_fma_f16 v56, v71, 2.0, -v58
	v_fmac_f16_e32 v10, v63, v47
	v_fmac_f16_e32 v50, v66, v52
	;; [unrolled: 1-line block ×3, first 2 shown]
	v_fma_f16 v5, v63, v5, -v8
	v_fma_f16 v60, v66, v46, -v41
	;; [unrolled: 1-line block ×3, first 2 shown]
	v_mul_f16_e32 v41, v56, v43
	v_mul_f16_e32 v45, v38, v43
	;; [unrolled: 1-line block ×8, first 2 shown]
	v_fma_f16 v47, v38, v61, -v41
	v_fmac_f16_e32 v45, v56, v61
	v_fma_f16 v46, v59, v5, -v46
	v_fmac_f16_e32 v43, v57, v5
	;; [unrolled: 2-line block ×4, first 2 shown]
	s_wait_alu 0xfffe
	s_cbranch_vccnz .LBB0_32
; %bb.31:
	v_mad_co_u64_u32 v[5:6], null, s6, v15, 0
	v_mad_co_u64_u32 v[50:51], null, s4, v11, 0
	;; [unrolled: 1-line block ×3, first 2 shown]
	s_lshl_b64 s[8:9], s[10:11], 2
	v_perm_b32 v60, v48, v49, 0x5040100
	s_delay_alu instid0(VALU_DEP_4) | instskip(SKIP_1) | instid1(VALU_DEP_4)
	v_mad_co_u64_u32 v[54:55], null, s7, v15, v[6:7]
	v_mad_co_u64_u32 v[55:56], null, s4, v14, 0
	;; [unrolled: 1-line block ×3, first 2 shown]
	s_wait_alu 0xfffe
	s_add_nc_u64 s[8:9], s[12:13], s[8:9]
	v_perm_b32 v63, v7, v9, 0x5040100
	s_delay_alu instid0(VALU_DEP_4) | instskip(NEXT) | instid1(VALU_DEP_4)
	v_mov_b32_e32 v6, v54
	v_mov_b32_e32 v54, v56
	s_and_b32 s14, s0, exec_lo
	s_delay_alu instid0(VALU_DEP_4) | instskip(NEXT) | instid1(VALU_DEP_3)
	v_mov_b32_e32 v51, v57
	v_lshlrev_b64_e32 v[5:6], 2, v[5:6]
	s_delay_alu instid0(VALU_DEP_3) | instskip(NEXT) | instid1(VALU_DEP_3)
	v_mad_co_u64_u32 v[56:57], null, s5, v13, v[53:54]
	v_lshlrev_b64_e32 v[50:51], 2, v[50:51]
	s_wait_alu 0xfffe
	s_delay_alu instid0(VALU_DEP_3) | instskip(SKIP_2) | instid1(VALU_DEP_4)
	v_add_co_u32 v5, vcc_lo, s8, v5
	s_wait_alu 0xfffd
	v_add_co_ci_u32_e32 v6, vcc_lo, s9, v6, vcc_lo
	v_mov_b32_e32 v53, v56
	v_mad_co_u64_u32 v[57:58], null, s5, v14, v[54:55]
	v_add_co_u32 v50, vcc_lo, v5, v50
	s_delay_alu instid0(VALU_DEP_3)
	v_lshlrev_b64_e32 v[52:53], 2, v[52:53]
	s_wait_alu 0xfffd
	v_add_co_ci_u32_e32 v51, vcc_lo, v6, v51, vcc_lo
	v_mad_co_u64_u32 v[58:59], null, s4, v12, 0
	v_dual_mov_b32 v56, v57 :: v_dual_and_b32 v57, 0xffff, v29
	global_store_b32 v[50:51], v60, off
	v_add_co_u32 v50, vcc_lo, v5, v52
	s_wait_alu 0xfffd
	v_add_co_ci_u32_e32 v51, vcc_lo, v6, v53, vcc_lo
	v_lshlrev_b64_e32 v[53:54], 2, v[55:56]
	v_mov_b32_e32 v52, v59
	v_mad_u32_u24 v61, 0x78, v57, v16
	v_perm_b32 v60, v40, v44, 0x5040100
	s_delay_alu instid0(VALU_DEP_3) | instskip(NEXT) | instid1(VALU_DEP_3)
	v_mad_co_u64_u32 v[55:56], null, s5, v12, v[52:53]
	v_mad_co_u64_u32 v[56:57], null, s4, v61, 0
	v_add_co_u32 v52, vcc_lo, v5, v53
	s_wait_alu 0xfffd
	v_add_co_ci_u32_e32 v53, vcc_lo, v6, v54, vcc_lo
	s_delay_alu instid0(VALU_DEP_4)
	v_mov_b32_e32 v59, v55
	v_add_nc_u32_e32 v55, 40, v61
	v_perm_b32 v54, v39, v42, 0x5040100
	s_clause 0x1
	global_store_b32 v[50:51], v60, off
	global_store_b32 v[52:53], v54, off
	v_mov_b32_e32 v52, v57
	v_mad_co_u64_u32 v[53:54], null, s4, v55, 0
	v_lshlrev_b64_e32 v[50:51], 2, v[58:59]
	v_add_nc_u32_e32 v62, 0x50, v61
	v_add_nc_u32_e32 v64, 0x78, v61
	s_delay_alu instid0(VALU_DEP_4) | instskip(NEXT) | instid1(VALU_DEP_4)
	v_mad_co_u64_u32 v[57:58], null, s5, v61, v[52:53]
	v_add_co_u32 v50, vcc_lo, v5, v50
	s_delay_alu instid0(VALU_DEP_4)
	v_mad_co_u64_u32 v[58:59], null, s4, v62, 0
	s_wait_alu 0xfffd
	v_add_co_ci_u32_e32 v51, vcc_lo, v6, v51, vcc_lo
	v_mov_b32_e32 v52, v54
	v_mad_co_u64_u32 v[60:61], null, s4, v64, 0
	global_store_b32 v[50:51], v63, off
	v_mov_b32_e32 v50, v59
	v_mad_co_u64_u32 v[54:55], null, s5, v55, v[52:53]
	v_lshlrev_b64_e32 v[51:52], 2, v[56:57]
	s_delay_alu instid0(VALU_DEP_1)
	v_mad_co_u64_u32 v[55:56], null, s5, v62, v[50:51]
	v_mov_b32_e32 v50, v61
	v_add_co_u32 v51, vcc_lo, v5, v51
	v_lshlrev_b64_e32 v[53:54], 2, v[53:54]
	s_wait_alu 0xfffd
	v_add_co_ci_u32_e32 v52, vcc_lo, v6, v52, vcc_lo
	s_delay_alu instid0(VALU_DEP_3)
	v_mad_co_u64_u32 v[56:57], null, s5, v64, v[50:51]
	v_perm_b32 v61, v45, v47, 0x5040100
	v_mov_b32_e32 v59, v55
	v_add_co_u32 v53, vcc_lo, v5, v53
	s_wait_alu 0xfffd
	v_add_co_ci_u32_e32 v54, vcc_lo, v6, v54, vcc_lo
	v_perm_b32 v55, v43, v46, 0x5040100
	global_store_b32 v[51:52], v61, off
	v_mov_b32_e32 v61, v56
	v_lshlrev_b64_e32 v[50:51], 2, v[58:59]
	global_store_b32 v[53:54], v55, off
	v_perm_b32 v54, v10, v41, 0x5040100
	v_lshlrev_b64_e32 v[52:53], 2, v[60:61]
	v_perm_b32 v55, v8, v38, 0x5040100
	v_add_co_u32 v50, vcc_lo, v5, v50
	s_wait_alu 0xfffd
	v_add_co_ci_u32_e32 v51, vcc_lo, v6, v51, vcc_lo
	s_delay_alu instid0(VALU_DEP_4)
	v_add_co_u32 v52, vcc_lo, v5, v52
	s_wait_alu 0xfffd
	v_add_co_ci_u32_e32 v53, vcc_lo, v6, v53, vcc_lo
	s_clause 0x1
	global_store_b32 v[50:51], v54, off
	global_store_b32 v[52:53], v55, off
	s_cbranch_execz .LBB0_33
	s_branch .LBB0_36
.LBB0_32:
                                        ; implicit-def: $vgpr5_vgpr6
.LBB0_33:
	s_mov_b32 s1, exec_lo
                                        ; implicit-def: $vgpr5_vgpr6
	v_cmpx_gt_u64_e64 s[2:3], v[3:4]
	s_cbranch_execz .LBB0_35
; %bb.34:
	v_mad_co_u64_u32 v[3:4], null, s6, v15, 0
	v_mad_co_u64_u32 v[5:6], null, s4, v11, 0
	;; [unrolled: 1-line block ×3, first 2 shown]
	s_lshl_b64 s[2:3], s[10:11], 2
	v_perm_b32 v40, v40, v44, 0x5040100
	s_wait_alu 0xfffe
	s_add_nc_u64 s[2:3], s[12:13], s[2:3]
	v_perm_b32 v39, v39, v42, 0x5040100
	s_delay_alu instid0(VALU_DEP_4) | instskip(SKIP_3) | instid1(VALU_DEP_4)
	v_mad_co_u64_u32 v[52:53], null, s7, v15, v[4:5]
	v_mad_co_u64_u32 v[53:54], null, s4, v14, 0
	;; [unrolled: 1-line block ×3, first 2 shown]
	v_perm_b32 v56, v48, v49, 0x5040100
	v_dual_mov_b32 v15, v51 :: v_dual_mov_b32 v4, v52
	s_delay_alu instid0(VALU_DEP_4) | instskip(SKIP_2) | instid1(VALU_DEP_4)
	v_dual_mov_b32 v48, v54 :: v_dual_and_b32 v29, 0xffff, v29
	v_perm_b32 v9, v7, v9, 0x5040100
	v_mov_b32_e32 v6, v55
	v_lshlrev_b64_e32 v[3:4], 2, v[3:4]
	v_mad_co_u64_u32 v[51:52], null, s5, v13, v[15:16]
	v_mad_co_u64_u32 v[13:14], null, s5, v14, v[48:49]
	s_delay_alu instid0(VALU_DEP_4) | instskip(SKIP_1) | instid1(VALU_DEP_4)
	v_lshlrev_b64_e32 v[14:15], 2, v[5:6]
	s_wait_alu 0xfffe
	v_add_co_u32 v5, vcc_lo, s2, v3
	s_wait_alu 0xfffd
	v_add_co_ci_u32_e32 v6, vcc_lo, s3, v4, vcc_lo
	v_mad_co_u64_u32 v[48:49], null, s4, v12, 0
	s_delay_alu instid0(VALU_DEP_3) | instskip(SKIP_1) | instid1(VALU_DEP_3)
	v_add_co_u32 v3, vcc_lo, v5, v14
	s_wait_alu 0xfffd
	v_add_co_ci_u32_e32 v4, vcc_lo, v6, v15, vcc_lo
	v_lshlrev_b64_e32 v[14:15], 2, v[50:51]
	s_delay_alu instid0(VALU_DEP_4)
	v_dual_mov_b32 v54, v13 :: v_dual_mov_b32 v13, v49
	global_store_b32 v[3:4], v56, off
	v_mad_u32_u24 v29, 0x78, v29, v16
	s_and_not1_b32 s2, s14, exec_lo
	v_add_co_u32 v3, vcc_lo, v5, v14
	s_wait_alu 0xfffd
	v_add_co_ci_u32_e32 v4, vcc_lo, v6, v15, vcc_lo
	v_lshlrev_b64_e32 v[14:15], 2, v[53:54]
	v_add_nc_u32_e32 v42, 40, v29
	v_add_nc_u32_e32 v44, 0x50, v29
	s_delay_alu instid0(VALU_DEP_3) | instskip(SKIP_4) | instid1(VALU_DEP_4)
	v_mad_co_u64_u32 v[12:13], null, s5, v12, v[13:14]
	v_add_co_u32 v13, vcc_lo, v5, v14
	s_wait_alu 0xfffd
	v_add_co_ci_u32_e32 v14, vcc_lo, v6, v15, vcc_lo
	v_mad_co_u64_u32 v[15:16], null, s4, v29, 0
	v_mov_b32_e32 v49, v12
	s_clause 0x1
	global_store_b32 v[3:4], v40, off
	global_store_b32 v[13:14], v39, off
	v_mad_co_u64_u32 v[13:14], null, s4, v42, 0
	v_lshlrev_b64_e32 v[3:4], 2, v[48:49]
	v_mov_b32_e32 v12, v16
	v_mad_co_u64_u32 v[48:49], null, s4, v44, 0
	s_delay_alu instid0(VALU_DEP_4) | instskip(NEXT) | instid1(VALU_DEP_4)
	v_mov_b32_e32 v7, v14
	v_add_co_u32 v3, vcc_lo, v5, v3
	s_wait_alu 0xfffd
	v_add_co_ci_u32_e32 v4, vcc_lo, v6, v4, vcc_lo
	v_mad_co_u64_u32 v[39:40], null, s5, v29, v[12:13]
	v_add_nc_u32_e32 v29, 0x78, v29
	global_store_b32 v[3:4], v9, off
	v_mov_b32_e32 v3, v49
                                        ; kill: def $vgpr4 killed $sgpr0 killed $exec
	v_mad_co_u64_u32 v[50:51], null, s5, v42, v[7:8]
	v_perm_b32 v7, v45, v47, 0x5040100
	v_perm_b32 v9, v43, v46, 0x5040100
	s_delay_alu instid0(VALU_DEP_4)
	v_mad_co_u64_u32 v[3:4], null, s5, v44, v[3:4]
	v_mov_b32_e32 v16, v39
	v_mad_co_u64_u32 v[39:40], null, s4, v29, 0
	v_mov_b32_e32 v14, v50
	v_perm_b32 v8, v8, v38, 0x5040100
	s_and_b32 s0, s0, exec_lo
	v_mov_b32_e32 v49, v3
	v_lshlrev_b64_e32 v[15:16], 2, v[15:16]
	v_lshlrev_b64_e32 v[12:13], 2, v[13:14]
	v_mov_b32_e32 v4, v40
	s_wait_alu 0xfffe
	s_or_b32 s14, s2, s0
	s_delay_alu instid0(VALU_DEP_3) | instskip(NEXT) | instid1(VALU_DEP_2)
	v_add_co_u32 v15, vcc_lo, v5, v15
	v_mad_co_u64_u32 v[44:45], null, s5, v29, v[4:5]
	s_wait_alu 0xfffd
	v_add_co_ci_u32_e32 v16, vcc_lo, v6, v16, vcc_lo
	v_add_co_u32 v3, vcc_lo, v5, v12
	s_wait_alu 0xfffd
	v_add_co_ci_u32_e32 v4, vcc_lo, v6, v13, vcc_lo
	s_delay_alu instid0(VALU_DEP_4)
	v_mov_b32_e32 v40, v44
	v_lshlrev_b64_e32 v[12:13], 2, v[48:49]
	s_clause 0x1
	global_store_b32 v[15:16], v7, off
	global_store_b32 v[3:4], v9, off
	v_perm_b32 v7, v10, v41, 0x5040100
	v_lshlrev_b64_e32 v[3:4], 2, v[39:40]
	v_add_co_u32 v12, vcc_lo, v5, v12
	s_wait_alu 0xfffd
	v_add_co_ci_u32_e32 v13, vcc_lo, v6, v13, vcc_lo
	s_delay_alu instid0(VALU_DEP_3)
	v_add_co_u32 v3, vcc_lo, v5, v3
	s_wait_alu 0xfffd
	v_add_co_ci_u32_e32 v4, vcc_lo, v6, v4, vcc_lo
	s_clause 0x1
	global_store_b32 v[12:13], v7, off
	global_store_b32 v[3:4], v8, off
.LBB0_35:
	s_wait_alu 0xfffe
	s_or_b32 exec_lo, exec_lo, s1
.LBB0_36:
	s_and_saveexec_b32 s0, s14
	s_cbranch_execnz .LBB0_38
; %bb.37:
	s_nop 0
	s_sendmsg sendmsg(MSG_DEALLOC_VGPRS)
	s_endpgm
.LBB0_38:
	s_wait_loadcnt 0xc
	v_lshrrev_b32_e32 v3, 16, v0
	v_lshrrev_b32_e32 v4, 16, v1
	;; [unrolled: 1-line block ×4, first 2 shown]
	s_wait_loadcnt 0x9
	v_lshrrev_b32_e32 v14, 16, v33
	v_mul_f16_e32 v9, v23, v3
	v_mul_f16_e32 v3, v22, v3
	;; [unrolled: 1-line block ×6, first 2 shown]
	v_fma_f16 v9, v22, v0, -v9
	v_fmac_f16_e32 v3, v23, v0
	v_fma_f16 v0, v19, v1, -v10
	v_fmac_f16_e32 v4, v7, v1
	v_fma_f16 v1, v17, v2, -v12
	v_lshrrev_b32_e32 v10, 16, v37
	v_lshrrev_b32_e32 v12, 16, v36
	v_fmac_f16_e32 v8, v18, v2
	v_sub_f16_e32 v0, v20, v0
	v_sub_f16_e32 v2, v21, v4
	;; [unrolled: 1-line block ×3, first 2 shown]
	v_mul_f16_e32 v13, v10, v12
	v_sub_f16_e32 v4, v3, v8
	v_mul_f16_e32 v12, v37, v12
	s_wait_loadcnt 0x8
	v_lshrrev_b32_e32 v15, 16, v35
	s_wait_loadcnt 0x7
	v_lshrrev_b32_e32 v16, 16, v34
	v_fma_f16 v13, v37, v36, -v13
	v_fma_f16 v7, v20, 2.0, -v0
	v_fma_f16 v8, v21, 2.0, -v2
	;; [unrolled: 1-line block ×4, first 2 shown]
	v_add_f16_e32 v17, v2, v1
	v_fmac_f16_e32 v12, v10, v36
	v_mul_f16_e32 v1, v13, v14
	v_mul_f16_e32 v10, v15, v16
	;; [unrolled: 1-line block ×3, first 2 shown]
	v_sub_f16_e32 v9, v7, v9
	v_sub_f16_e32 v3, v8, v3
	v_mul_f16_e32 v14, v12, v14
	v_fmac_f16_e32 v1, v33, v12
	v_fma_f16 v10, v35, v34, -v10
	s_wait_loadcnt 0x6
	v_lshrrev_b32_e32 v12, 16, v32
	v_fmac_f16_e32 v16, v15, v34
	s_wait_loadcnt 0x5
	v_lshrrev_b32_e32 v15, 16, v31
	s_wait_loadcnt 0x4
	v_lshrrev_b32_e32 v18, 16, v30
	v_fma_f16 v7, v7, 2.0, -v9
	v_fma_f16 v8, v8, 2.0, -v3
	v_fma_f16 v13, v33, v13, -v14
	v_mul_f16_e32 v14, v10, v12
	v_mul_f16_e32 v12, v16, v12
	;; [unrolled: 1-line block ×5, first 2 shown]
	v_fmac_f16_e32 v14, v32, v16
	v_fma_f16 v1, v32, v10, -v12
	v_mul_f16_e32 v10, v31, v18
	v_fma_f16 v12, v31, v30, -v20
	s_wait_loadcnt 0x3
	v_lshrrev_b32_e32 v16, 16, v28
	v_sub_f16_e32 v4, v0, v4
	v_fma_f16 v2, v2, 2.0, -v17
	v_fmac_f16_e32 v10, v15, v30
	v_fma_f16 v19, v7, v13, -v19
	v_fmac_f16_e32 v21, v8, v13
	v_mul_f16_e32 v7, v12, v16
	s_wait_loadcnt 0x1
	v_lshrrev_b32_e32 v8, 16, v27
	v_mul_f16_e32 v13, v10, v16
	v_lshrrev_b32_e32 v16, 16, v26
	v_fma_f16 v0, v0, 2.0, -v4
	v_mul_f16_e32 v18, v2, v14
	v_fmac_f16_e32 v7, v28, v10
	v_mul_f16_e32 v10, v26, v8
	v_mul_f16_e32 v8, v16, v8
	s_delay_alu instid0(VALU_DEP_4)
	v_fma_f16 v15, v0, v1, -v18
	v_mul_f16_e32 v18, v0, v14
	v_fma_f16 v0, v28, v12, -v13
	v_mul_f16_e32 v12, v3, v7
	v_mul_f16_e32 v20, v9, v7
	v_fmac_f16_e32 v10, v16, v27
	s_wait_loadcnt 0x0
	v_lshrrev_b32_e32 v7, 16, v25
	v_fma_f16 v8, v26, v27, -v8
	v_fmac_f16_e32 v18, v2, v1
	v_fma_f16 v16, v9, v0, -v12
	v_add_nc_u32_e32 v12, 0x48, v11
	v_mul_f16_e32 v2, v10, v7
	v_mul_f16_e32 v9, v8, v7
	v_or_b32_e32 v14, 0x70, v11
	v_fmac_f16_e32 v20, v3, v0
	v_mad_co_u64_u32 v[0:1], null, s4, v24, 0
	v_fma_f16 v22, v25, v8, -v2
	v_mad_co_u64_u32 v[2:3], null, s4, v12, 0
	v_fmac_f16_e32 v9, v25, v10
	v_mad_co_u64_u32 v[7:8], null, s4, v14, 0
	v_add_nc_u32_e32 v26, 0x98, v11
	s_delay_alu instid0(VALU_DEP_3)
	v_mul_f16_e32 v23, v17, v9
	v_mul_f16_e32 v25, v4, v9
	v_mad_co_u64_u32 v[9:10], null, s5, v24, v[1:2]
	v_mov_b32_e32 v1, v3
	v_mov_b32_e32 v3, v8
	v_mad_co_u64_u32 v[10:11], null, s4, v26, 0
	v_fmac_f16_e32 v25, v17, v22
	s_delay_alu instid0(VALU_DEP_4) | instskip(NEXT) | instid1(VALU_DEP_4)
	v_mad_co_u64_u32 v[12:13], null, s5, v12, v[1:2]
	v_mad_co_u64_u32 v[13:14], null, s5, v14, v[3:4]
	v_mov_b32_e32 v1, v9
	v_fma_f16 v14, v4, v22, -v23
	s_delay_alu instid0(VALU_DEP_4) | instskip(NEXT) | instid1(VALU_DEP_3)
	v_dual_mov_b32 v4, v11 :: v_dual_mov_b32 v3, v12
	v_lshlrev_b64_e32 v[0:1], 2, v[0:1]
	v_mov_b32_e32 v8, v13
	s_delay_alu instid0(VALU_DEP_3) | instskip(NEXT) | instid1(VALU_DEP_4)
	v_mad_co_u64_u32 v[11:12], null, s5, v26, v[4:5]
	v_lshlrev_b64_e32 v[2:3], 2, v[2:3]
	v_pack_b32_f16 v12, v19, v21
	v_add_co_u32 v0, vcc_lo, v5, v0
	v_lshlrev_b64_e32 v[7:8], 2, v[7:8]
	s_wait_alu 0xfffd
	v_add_co_ci_u32_e32 v1, vcc_lo, v6, v1, vcc_lo
	v_add_co_u32 v2, vcc_lo, v5, v2
	v_lshlrev_b64_e32 v[9:10], 2, v[10:11]
	s_wait_alu 0xfffd
	v_add_co_ci_u32_e32 v3, vcc_lo, v6, v3, vcc_lo
	v_add_co_u32 v7, vcc_lo, v5, v7
	s_wait_alu 0xfffd
	v_add_co_ci_u32_e32 v8, vcc_lo, v6, v8, vcc_lo
	v_pack_b32_f16 v13, v15, v18
	v_add_co_u32 v4, vcc_lo, v5, v9
	v_pack_b32_f16 v11, v16, v20
	s_wait_alu 0xfffd
	v_add_co_ci_u32_e32 v5, vcc_lo, v6, v10, vcc_lo
	v_pack_b32_f16 v6, v14, v25
	s_clause 0x3
	global_store_b32 v[0:1], v12, off
	global_store_b32 v[2:3], v13, off
	;; [unrolled: 1-line block ×4, first 2 shown]
	s_nop 0
	s_sendmsg sendmsg(MSG_DEALLOC_VGPRS)
	s_endpgm
	.section	.rodata,"a",@progbits
	.p2align	6, 0x0
	.amdhsa_kernel fft_rtc_fwd_len160_factors_4_10_4_wgs_192_tpt_16_half_ip_CI_sbcc_twdbase8_3step_dirReg
		.amdhsa_group_segment_fixed_size 0
		.amdhsa_private_segment_fixed_size 0
		.amdhsa_kernarg_size 96
		.amdhsa_user_sgpr_count 2
		.amdhsa_user_sgpr_dispatch_ptr 0
		.amdhsa_user_sgpr_queue_ptr 0
		.amdhsa_user_sgpr_kernarg_segment_ptr 1
		.amdhsa_user_sgpr_dispatch_id 0
		.amdhsa_user_sgpr_private_segment_size 0
		.amdhsa_wavefront_size32 1
		.amdhsa_uses_dynamic_stack 0
		.amdhsa_enable_private_segment 0
		.amdhsa_system_sgpr_workgroup_id_x 1
		.amdhsa_system_sgpr_workgroup_id_y 0
		.amdhsa_system_sgpr_workgroup_id_z 0
		.amdhsa_system_sgpr_workgroup_info 0
		.amdhsa_system_vgpr_workitem_id 0
		.amdhsa_next_free_vgpr 96
		.amdhsa_next_free_sgpr 51
		.amdhsa_reserve_vcc 1
		.amdhsa_float_round_mode_32 0
		.amdhsa_float_round_mode_16_64 0
		.amdhsa_float_denorm_mode_32 3
		.amdhsa_float_denorm_mode_16_64 3
		.amdhsa_fp16_overflow 0
		.amdhsa_workgroup_processor_mode 1
		.amdhsa_memory_ordered 1
		.amdhsa_forward_progress 0
		.amdhsa_round_robin_scheduling 0
		.amdhsa_exception_fp_ieee_invalid_op 0
		.amdhsa_exception_fp_denorm_src 0
		.amdhsa_exception_fp_ieee_div_zero 0
		.amdhsa_exception_fp_ieee_overflow 0
		.amdhsa_exception_fp_ieee_underflow 0
		.amdhsa_exception_fp_ieee_inexact 0
		.amdhsa_exception_int_div_zero 0
	.end_amdhsa_kernel
	.text
.Lfunc_end0:
	.size	fft_rtc_fwd_len160_factors_4_10_4_wgs_192_tpt_16_half_ip_CI_sbcc_twdbase8_3step_dirReg, .Lfunc_end0-fft_rtc_fwd_len160_factors_4_10_4_wgs_192_tpt_16_half_ip_CI_sbcc_twdbase8_3step_dirReg
                                        ; -- End function
	.section	.AMDGPU.csdata,"",@progbits
; Kernel info:
; codeLenInByte = 10148
; NumSgprs: 53
; NumVgprs: 96
; ScratchSize: 0
; MemoryBound: 0
; FloatMode: 240
; IeeeMode: 1
; LDSByteSize: 0 bytes/workgroup (compile time only)
; SGPRBlocks: 6
; VGPRBlocks: 11
; NumSGPRsForWavesPerEU: 53
; NumVGPRsForWavesPerEU: 96
; Occupancy: 15
; WaveLimiterHint : 1
; COMPUTE_PGM_RSRC2:SCRATCH_EN: 0
; COMPUTE_PGM_RSRC2:USER_SGPR: 2
; COMPUTE_PGM_RSRC2:TRAP_HANDLER: 0
; COMPUTE_PGM_RSRC2:TGID_X_EN: 1
; COMPUTE_PGM_RSRC2:TGID_Y_EN: 0
; COMPUTE_PGM_RSRC2:TGID_Z_EN: 0
; COMPUTE_PGM_RSRC2:TIDIG_COMP_CNT: 0
	.text
	.p2alignl 7, 3214868480
	.fill 96, 4, 3214868480
	.type	__hip_cuid_a4195f3e8780196a,@object ; @__hip_cuid_a4195f3e8780196a
	.section	.bss,"aw",@nobits
	.globl	__hip_cuid_a4195f3e8780196a
__hip_cuid_a4195f3e8780196a:
	.byte	0                               ; 0x0
	.size	__hip_cuid_a4195f3e8780196a, 1

	.ident	"AMD clang version 19.0.0git (https://github.com/RadeonOpenCompute/llvm-project roc-6.4.0 25133 c7fe45cf4b819c5991fe208aaa96edf142730f1d)"
	.section	".note.GNU-stack","",@progbits
	.addrsig
	.addrsig_sym __hip_cuid_a4195f3e8780196a
	.amdgpu_metadata
---
amdhsa.kernels:
  - .args:
      - .actual_access:  read_only
        .address_space:  global
        .offset:         0
        .size:           8
        .value_kind:     global_buffer
      - .address_space:  global
        .offset:         8
        .size:           8
        .value_kind:     global_buffer
      - .offset:         16
        .size:           8
        .value_kind:     by_value
      - .actual_access:  read_only
        .address_space:  global
        .offset:         24
        .size:           8
        .value_kind:     global_buffer
      - .actual_access:  read_only
        .address_space:  global
        .offset:         32
        .size:           8
        .value_kind:     global_buffer
      - .offset:         40
        .size:           8
        .value_kind:     by_value
      - .actual_access:  read_only
        .address_space:  global
        .offset:         48
        .size:           8
        .value_kind:     global_buffer
      - .actual_access:  read_only
        .address_space:  global
        .offset:         56
        .size:           8
        .value_kind:     global_buffer
      - .offset:         64
        .size:           4
        .value_kind:     by_value
      - .actual_access:  read_only
        .address_space:  global
        .offset:         72
        .size:           8
        .value_kind:     global_buffer
      - .actual_access:  read_only
        .address_space:  global
        .offset:         80
        .size:           8
        .value_kind:     global_buffer
      - .address_space:  global
        .offset:         88
        .size:           8
        .value_kind:     global_buffer
    .group_segment_fixed_size: 0
    .kernarg_segment_align: 8
    .kernarg_segment_size: 96
    .language:       OpenCL C
    .language_version:
      - 2
      - 0
    .max_flat_workgroup_size: 192
    .name:           fft_rtc_fwd_len160_factors_4_10_4_wgs_192_tpt_16_half_ip_CI_sbcc_twdbase8_3step_dirReg
    .private_segment_fixed_size: 0
    .sgpr_count:     53
    .sgpr_spill_count: 0
    .symbol:         fft_rtc_fwd_len160_factors_4_10_4_wgs_192_tpt_16_half_ip_CI_sbcc_twdbase8_3step_dirReg.kd
    .uniform_work_group_size: 1
    .uses_dynamic_stack: false
    .vgpr_count:     96
    .vgpr_spill_count: 0
    .wavefront_size: 32
    .workgroup_processor_mode: 1
amdhsa.target:   amdgcn-amd-amdhsa--gfx1201
amdhsa.version:
  - 1
  - 2
...

	.end_amdgpu_metadata
